;; amdgpu-corpus repo=zjin-lcf/HeCBench kind=compiled arch=gfx906 opt=O3
	.amdgcn_target "amdgcn-amd-amdhsa--gfx906"
	.amdhsa_code_object_version 6
	.text
	.protected	_Z7kernel1iiiiiiiiiiiiddPKdS0_S0_S0_S0_PdS0_S0_S0_S0_S0_S0_S0_ ; -- Begin function _Z7kernel1iiiiiiiiiiiiddPKdS0_S0_S0_S0_PdS0_S0_S0_S0_S0_S0_S0_
	.globl	_Z7kernel1iiiiiiiiiiiiddPKdS0_S0_S0_S0_PdS0_S0_S0_S0_S0_S0_S0_
	.p2align	8
	.type	_Z7kernel1iiiiiiiiiiiiddPKdS0_S0_S0_S0_PdS0_S0_S0_S0_S0_S0_S0_,@function
_Z7kernel1iiiiiiiiiiiiddPKdS0_S0_S0_S0_PdS0_S0_S0_S0_S0_S0_S0_: ; @_Z7kernel1iiiiiiiiiiiiddPKdS0_S0_S0_S0_PdS0_S0_S0_S0_S0_S0_S0_
; %bb.0:
	s_mov_b64 s[46:47], s[2:3]
	s_mov_b64 s[44:45], s[0:1]
	s_load_dwordx8 s[24:31], s[4:5], 0x0
	s_load_dwordx2 s[0:1], s[4:5], 0xb4
	s_add_u32 s44, s44, s9
	s_addc_u32 s45, s45, 0
	s_waitcnt lgkmcnt(0)
	v_add_u32_e32 v3, s24, v0
	s_lshr_b32 s2, s0, 16
	s_and_b32 s0, s0, 0xffff
	s_mul_i32 s42, s7, s2
	s_and_b32 s1, s1, 0xffff
	s_mul_i32 s6, s6, s0
	s_add_i32 s0, s42, s26
	v_add_u32_e32 v20, s0, v1
	s_mul_i32 s0, s8, s1
	v_add_u32_e32 v21, s6, v3
	s_add_i32 s0, s0, s28
	v_add_u32_e32 v55, s0, v2
	v_cmp_gt_i32_e32 vcc, s25, v21
	v_cmp_gt_i32_e64 s[0:1], s27, v20
	s_and_b64 s[0:1], vcc, s[0:1]
	v_cmp_gt_i32_e32 vcc, s29, v55
	s_and_b64 s[0:1], s[0:1], vcc
	s_and_saveexec_b64 s[2:3], s[0:1]
	s_cbranch_execz .LBB0_12
; %bb.1:
	buffer_store_dword v0, off, s[44:47], 0 offset:8 ; 4-byte Folded Spill
	s_load_dwordx4 s[8:11], s[4:5], 0x98
	s_load_dwordx4 s[36:39], s[4:5], 0x20
	v_subrev_u32_e32 v0, s30, v21
	buffer_store_dword v1, off, s[44:47], 0 offset:336 ; 4-byte Folded Spill
	v_ashrrev_i32_e32 v1, 31, v0
	buffer_store_dword v3, off, s[44:47], 0 offset:344 ; 4-byte Folded Spill
	s_waitcnt lgkmcnt(0)
	v_subrev_u32_e32 v2, s36, v20
	v_ashrrev_i32_e32 v3, 31, v2
	v_lshlrev_b64 v[0:1], 3, v[0:1]
	v_lshlrev_b64 v[2:3], 3, v[2:3]
	v_add_co_u32_e32 v16, vcc, s8, v0
	v_add_co_u32_e64 v2, s[0:1], s10, v2
	v_mov_b32_e32 v0, s11
	v_addc_co_u32_e64 v3, s[0:1], v0, v3, s[0:1]
	buffer_store_dword v2, off, s[44:47], 0 offset:16 ; 4-byte Folded Spill
	s_nop 0
	buffer_store_dword v3, off, s[44:47], 0 offset:20 ; 4-byte Folded Spill
	v_mov_b32_e32 v0, s9
	v_addc_co_u32_e32 v17, vcc, v0, v1, vcc
	global_load_dwordx4 v[6:9], v[16:17], off
	s_sub_i32 s27, s31, s30
	s_sub_i32 s43, s37, s36
	s_add_i32 s43, s43, 1
	s_sub_i32 s2, s39, s38
	s_add_i32 s2, s2, 1
	v_add_u32_e32 v15, -2, v21
	s_load_dwordx8 s[8:15], s[4:5], 0x40
	v_add_u32_e32 v26, -1, v21
	v_add_u32_e32 v34, 1, v21
	v_ashrrev_i32_e32 v31, 31, v21
	s_waitcnt lgkmcnt(0)
	v_mov_b32_e32 v35, s11
	v_mov_b32_e32 v36, s13
	;; [unrolled: 1-line block ×9, first 2 shown]
	global_load_dwordx4 v[2:5], v[2:3], off
	s_waitcnt vmcnt(1)
	v_div_scale_f64 v[10:11], s[0:1], v[6:7], v[6:7], 1.0
	v_rcp_f64_e32 v[18:19], v[10:11]
	v_fma_f64 v[24:25], -v[10:11], v[18:19], 1.0
	v_fma_f64 v[18:19], v[18:19], v[24:25], v[18:19]
	v_fma_f64 v[29:30], -v[10:11], v[18:19], 1.0
	v_fma_f64 v[18:19], v[18:19], v[29:30], v[18:19]
	s_waitcnt vmcnt(0)
	v_div_scale_f64 v[0:1], s[0:1], v[2:3], v[2:3], 1.0
	s_not_b32 s0, s27
	s_mul_i32 s25, s36, s0
	v_div_scale_f64 v[27:28], s[0:1], 1.0, v[6:7], 1.0
	s_add_i32 s27, s27, 1
	s_mul_i32 s7, s43, s27
	v_mul_lo_u32 v33, v20, s27
	s_mul_i32 s3, s7, s38
	s_mul_i32 s28, s2, s7
	s_add_i32 s2, s30, s3
	v_mul_lo_u32 v32, v55, s7
	s_sub_i32 s2, s25, s2
	v_add_u32_e32 v14, s2, v21
	v_add_u32_e32 v44, v33, v14
	v_rcp_f64_e32 v[12:13], v[0:1]
	buffer_store_dword v44, off, s[44:47], 0 offset:360 ; 4-byte Folded Spill
	v_add3_u32 v61, v32, v33, s2
	s_sub_i32 s41, s2, s28
	v_mul_f64 v[29:30], v[27:28], v[18:19]
	s_ashr_i32 s16, s41, 31
	v_add_co_u32_e64 v48, s[2:3], s41, v21
	v_ashrrev_i32_e32 v45, 31, v33
	v_ashrrev_i32_e32 v47, 31, v32
	s_ashr_i32 s29, s28, 31
	v_mov_b32_e32 v46, s29
	v_add_u32_e32 v20, -2, v20
	s_lshl_b32 s33, s28, 1
	s_ashr_i32 s34, s33, 31
	s_mul_i32 s35, s28, 3
	v_fma_f64 v[22:23], -v[0:1], v[12:13], 1.0
	s_ashr_i32 s40, s35, 31
	v_fma_f64 v[12:13], v[12:13], v[22:23], v[12:13]
	v_div_scale_f64 v[22:23], vcc, 1.0, v[2:3], 1.0
	v_fma_f64 v[24:25], -v[0:1], v[12:13], 1.0
	v_fma_f64 v[12:13], v[12:13], v[24:25], v[12:13]
	v_mul_f64 v[24:25], v[22:23], v[12:13]
	v_fma_f64 v[0:1], -v[0:1], v[24:25], v[22:23]
	v_fma_f64 v[22:23], -v[10:11], v[29:30], v[27:28]
	v_div_fmas_f64 v[0:1], v[0:1], v[12:13], v[24:25]
	s_mov_b64 vcc, s[0:1]
	v_add_u32_e32 v12, v61, v15
	v_ashrrev_i32_e32 v13, 31, v12
	v_add_u32_e32 v24, v61, v26
	v_lshlrev_b64 v[12:13], 3, v[12:13]
	v_ashrrev_i32_e32 v25, 31, v24
	buffer_store_dword v0, off, s[44:47], 0 offset:32 ; 4-byte Folded Spill
	s_nop 0
	buffer_store_dword v1, off, s[44:47], 0 offset:36 ; 4-byte Folded Spill
	buffer_store_dword v15, off, s[44:47], 0 offset:288 ; 4-byte Folded Spill
	v_div_fmas_f64 v[0:1], v[22:23], v[18:19], v[29:30]
	v_lshlrev_b64 v[22:23], 3, v[24:25]
	v_add_co_u32_e32 v24, vcc, s10, v12
	v_addc_co_u32_e32 v25, vcc, v35, v13, vcc
	v_add_co_u32_e32 v27, vcc, s12, v12
	v_addc_co_u32_e32 v28, vcc, v36, v13, vcc
	v_add_u32_e32 v18, v61, v34
	v_add_co_u32_e32 v29, vcc, s10, v22
	v_ashrrev_i32_e32 v19, 31, v18
	v_addc_co_u32_e32 v30, vcc, v37, v23, vcc
	v_lshlrev_b64 v[18:19], 3, v[18:19]
	v_add_co_u32_e32 v22, vcc, s12, v22
	v_addc_co_u32_e32 v23, vcc, v38, v23, vcc
	v_add_co_u32_e32 v35, vcc, s10, v18
	v_addc_co_u32_e32 v36, vcc, v42, v19, vcc
	v_add_co_u32_e32 v37, vcc, s12, v18
	v_mov_b32_e32 v12, s16
	buffer_store_dword v26, off, s[44:47], 0 offset:296 ; 4-byte Folded Spill
	buffer_store_dword v0, off, s[44:47], 0 offset:40 ; 4-byte Folded Spill
	s_nop 0
	buffer_store_dword v1, off, s[44:47], 0 offset:44 ; 4-byte Folded Spill
	buffer_store_dword v34, off, s[44:47], 0 offset:304 ; 4-byte Folded Spill
	v_addc_co_u32_e32 v38, vcc, v43, v19, vcc
	v_add_u32_e32 v42, s41, v21
	v_addc_co_u32_e64 v18, vcc, v31, v12, s[2:3]
	v_add_u32_e32 v12, v44, v32
	v_add_u32_e32 v0, v33, v42
	v_ashrrev_i32_e32 v13, 31, v12
	buffer_store_dword v0, off, s[44:47], 0 ; 4-byte Folded Spill
	v_add_u32_e32 v34, v0, v32
	v_lshlrev_b64 v[0:1], 3, v[12:13]
	buffer_store_dword v0, off, s[44:47], 0 offset:352 ; 4-byte Folded Spill
	s_nop 0
	buffer_store_dword v1, off, s[44:47], 0 offset:356 ; 4-byte Folded Spill
	v_add_co_u32_e32 v19, vcc, v48, v33
	v_add_co_u32_e64 v19, s[0:1], v19, v32
	v_addc_co_u32_e32 v18, vcc, v18, v45, vcc
	v_addc_co_u32_e64 v31, vcc, v18, v47, s[0:1]
	v_add_co_u32_e32 v18, vcc, s28, v19
	v_addc_co_u32_e32 v19, vcc, v31, v46, vcc
	v_lshlrev_b64 v[18:19], 3, v[18:19]
	v_add_u32_e32 v49, s28, v34
	v_add_co_u32_e32 v45, vcc, s14, v18
	v_addc_co_u32_e32 v46, vcc, v39, v19, vcc
	v_ashrrev_i32_e32 v50, 31, v49
	v_mov_b32_e32 v31, s15
	s_mov_b32 s2, 0
	s_mov_b32 s3, 0x40080000
	;; [unrolled: 1-line block ×4, first 2 shown]
	s_load_dwordx8 s[16:23], s[4:5], 0x60
	v_add_co_u32_e32 v18, vcc, s10, v0
	v_addc_co_u32_e32 v19, vcc, v40, v1, vcc
	global_load_dwordx2 v[43:44], v[18:19], off
	v_add_co_u32_e32 v47, vcc, s12, v0
	v_addc_co_u32_e32 v48, vcc, v41, v1, vcc
	v_lshlrev_b64 v[39:40], 3, v[49:50]
	s_waitcnt vmcnt(0)
	buffer_store_dword v43, off, s[44:47], 0 offset:88 ; 4-byte Folded Spill
	s_nop 0
	buffer_store_dword v44, off, s[44:47], 0 offset:92 ; 4-byte Folded Spill
	global_load_dwordx2 v[47:48], v[47:48], off
	s_nop 0
	global_load_dwordx2 v[24:25], v[24:25], off
	v_add_co_u32_e32 v49, vcc, s14, v39
	v_addc_co_u32_e32 v50, vcc, v31, v40, vcc
	v_mul_lo_u32 v31, v20, s27
	s_waitcnt vmcnt(0)
	buffer_store_dword v24, off, s[44:47], 0 offset:264 ; 4-byte Folded Spill
	s_nop 0
	buffer_store_dword v25, off, s[44:47], 0 offset:268 ; 4-byte Folded Spill
	global_load_dwordx2 v[12:13], v[27:28], off
	global_load_dwordx2 v[18:19], v[29:30], off
	v_add3_u32 v26, v31, v42, v32
	v_add_u32_e32 v20, s28, v26
	v_add_u32_e32 v33, s27, v31
	v_add3_u32 v41, v33, v42, v32
	s_waitcnt vmcnt(0)
	buffer_store_dword v18, off, s[44:47], 0 offset:256 ; 4-byte Folded Spill
	s_nop 0
	buffer_store_dword v19, off, s[44:47], 0 offset:260 ; 4-byte Folded Spill
	global_load_dwordx2 v[0:1], v[22:23], off
	s_nop 0
	global_load_dwordx2 v[35:36], v[35:36], off
	v_fma_f64 v[22:23], v[43:44], 2.0, v[47:48]
	s_waitcnt vmcnt(0)
	buffer_store_dword v35, off, s[44:47], 0 offset:216 ; 4-byte Folded Spill
	s_nop 0
	buffer_store_dword v36, off, s[44:47], 0 offset:220 ; 4-byte Folded Spill
	global_load_dwordx4 v[51:54], v[49:50], off
	global_load_dwordx2 v[10:11], v[37:38], off
	s_waitcnt vmcnt(1)
	buffer_store_dword v51, off, s[44:47], 0 offset:200 ; 4-byte Folded Spill
	s_nop 0
	buffer_store_dword v52, off, s[44:47], 0 offset:204 ; 4-byte Folded Spill
	buffer_store_dword v53, off, s[44:47], 0 offset:208 ; 4-byte Folded Spill
	;; [unrolled: 1-line block ×3, first 2 shown]
	global_load_dwordx4 v[56:59], v[45:46], off offset:-16
	s_waitcnt vmcnt(0)
	buffer_store_dword v56, off, s[44:47], 0 offset:48 ; 4-byte Folded Spill
	s_nop 0
	buffer_store_dword v57, off, s[44:47], 0 offset:52 ; 4-byte Folded Spill
	buffer_store_dword v58, off, s[44:47], 0 offset:56 ; 4-byte Folded Spill
	;; [unrolled: 1-line block ×4, first 2 shown]
	s_nop 0
	buffer_store_dword v13, off, s[44:47], 0 offset:228 ; 4-byte Folded Spill
	v_mul_f64 v[22:23], v[22:23], v[51:52]
	v_mul_f64 v[29:30], v[51:52], v[22:23]
	v_fma_f64 v[12:13], v[24:25], 2.0, v[12:13]
	buffer_store_dword v12, off, s[44:47], 0 offset:800 ; 4-byte Folded Spill
	s_nop 0
	buffer_store_dword v13, off, s[44:47], 0 offset:804 ; 4-byte Folded Spill
	buffer_store_dword v10, off, s[44:47], 0 offset:696 ; 4-byte Folded Spill
	s_nop 0
	buffer_store_dword v11, off, s[44:47], 0 offset:700 ; 4-byte Folded Spill
	v_mul_f64 v[24:25], v[12:13], v[56:57]
	v_fma_f64 v[10:11], v[35:36], 2.0, v[10:11]
	buffer_store_dword v10, off, s[44:47], 0 offset:704 ; 4-byte Folded Spill
	s_nop 0
	buffer_store_dword v11, off, s[44:47], 0 offset:708 ; 4-byte Folded Spill
	buffer_store_dword v0, off, s[44:47], 0 offset:192 ; 4-byte Folded Spill
	s_nop 0
	buffer_store_dword v1, off, s[44:47], 0 offset:196 ; 4-byte Folded Spill
	v_mul_f64 v[27:28], v[56:57], v[24:25]
	v_mul_f64 v[22:23], v[10:11], v[53:54]
	v_fma_f64 v[0:1], v[18:19], 2.0, v[0:1]
	buffer_store_dword v0, off, s[44:47], 0 offset:768 ; 4-byte Folded Spill
	s_nop 0
	buffer_store_dword v1, off, s[44:47], 0 offset:772 ; 4-byte Folded Spill
	buffer_store_dword v55, off, s[44:47], 0 offset:24 ; 4-byte Folded Spill
	s_nop 0
	buffer_store_dword v56, off, s[44:47], 0 offset:28 ; 4-byte Folded Spill
	global_load_dwordx4 v[10:13], v[16:17], off offset:-16
	v_mul_f64 v[46:47], v[53:54], v[22:23]
	v_mul_f64 v[53:54], v[6:7], v[29:30]
	s_waitcnt vmcnt(0)
	buffer_store_dword v10, off, s[44:47], 0 offset:64 ; 4-byte Folded Spill
	s_nop 0
	buffer_store_dword v11, off, s[44:47], 0 offset:68 ; 4-byte Folded Spill
	buffer_store_dword v12, off, s[44:47], 0 offset:72 ; 4-byte Folded Spill
	;; [unrolled: 1-line block ×3, first 2 shown]
	v_mul_f64 v[22:23], v[0:1], v[58:59]
	v_mul_f64 v[55:56], v[8:9], v[46:47]
	v_add_u32_e32 v0, 2, v21
	v_mov_b32_e32 v21, s11
	v_mul_f64 v[51:52], v[58:59], v[22:23]
	v_add_co_u32_e32 v59, vcc, s8, v39
	buffer_store_dword v39, off, s[44:47], 0 offset:576 ; 4-byte Folded Spill
	s_nop 0
	buffer_store_dword v40, off, s[44:47], 0 offset:580 ; 4-byte Folded Spill
	v_lshl_add_u32 v39, s27, 1, v33
	v_add3_u32 v45, v39, v42, v32
	v_fma_f64 v[22:23], v[10:11], v[27:28], v[55:56]
	v_fma_f64 v[24:25], v[12:13], v[51:52], v[53:54]
	v_mul_f64 v[51:52], v[12:13], v[51:52]
	v_fma_f64 v[27:28], v[10:11], v[27:28], v[53:54]
	v_fma_f64 v[57:58], v[24:25], s[2:3], v[22:23]
	v_mov_b32_e32 v22, s9
	v_fma_f64 v[27:28], v[27:28], s[0:1], v[51:52]
	v_addc_co_u32_e32 v60, vcc, v22, v40, vcc
	global_load_dwordx4 v[35:38], v[59:60], off
	global_load_dwordx4 v[22:25], v[59:60], off offset:-16
	v_mov_b32_e32 v40, s15
	buffer_store_dword v0, off, s[44:47], 0 offset:320 ; 4-byte Folded Spill
	s_waitcnt vmcnt(1)
	v_add_f64 v[24:25], v[24:25], -v[35:36]
	v_add_f64 v[22:23], v[22:23], -v[35:36]
	v_mul_f64 v[24:25], v[57:58], v[24:25]
	v_fma_f64 v[22:23], v[27:28], v[22:23], v[24:25]
	v_add_u32_e32 v24, v61, v0
	v_ashrrev_i32_e32 v25, 31, v24
	v_lshlrev_b64 v[24:25], 3, v[24:25]
	v_add_co_u32_e32 v27, vcc, s10, v24
	v_addc_co_u32_e32 v28, vcc, v21, v25, vcc
	global_load_dwordx2 v[12:13], v[27:28], off
	v_mov_b32_e32 v21, s13
	v_add_co_u32_e32 v24, vcc, s12, v24
	v_addc_co_u32_e32 v25, vcc, v21, v25, vcc
	v_fma_f64 v[27:28], v[8:9], v[46:47], v[53:54]
	s_waitcnt vmcnt(0)
	buffer_store_dword v12, off, s[44:47], 0 offset:248 ; 4-byte Folded Spill
	s_nop 0
	buffer_store_dword v13, off, s[44:47], 0 offset:252 ; 4-byte Folded Spill
	global_load_dwordx2 v[0:1], v[24:25], off
	global_load_dwordx2 v[18:19], v[49:50], off offset:16
	global_load_dwordx2 v[10:11], v[16:17], off offset:16
	s_waitcnt vmcnt(2)
	buffer_store_dword v0, off, s[44:47], 0 offset:736 ; 4-byte Folded Spill
	s_nop 0
	buffer_store_dword v1, off, s[44:47], 0 offset:740 ; 4-byte Folded Spill
	v_fma_f64 v[0:1], v[12:13], 2.0, v[0:1]
	buffer_store_dword v0, off, s[44:47], 0 offset:752 ; 4-byte Folded Spill
	s_nop 0
	buffer_store_dword v1, off, s[44:47], 0 offset:756 ; 4-byte Folded Spill
	s_waitcnt vmcnt(5)
	buffer_store_dword v18, off, s[44:47], 0 offset:232 ; 4-byte Folded Spill
	s_nop 0
	buffer_store_dword v19, off, s[44:47], 0 offset:236 ; 4-byte Folded Spill
	s_waitcnt vmcnt(6)
	buffer_store_dword v10, off, s[44:47], 0 offset:240 ; 4-byte Folded Spill
	s_nop 0
	buffer_store_dword v11, off, s[44:47], 0 offset:244 ; 4-byte Folded Spill
	v_mul_f64 v[16:17], v[0:1], v[18:19]
	v_mul_f64 v[16:17], v[18:19], v[16:17]
	v_fma_f64 v[24:25], v[10:11], v[16:17], v[51:52]
	v_fma_f64 v[16:17], v[10:11], v[16:17], v[53:54]
	v_fma_f64 v[24:25], v[27:28], s[2:3], v[24:25]
	v_add_f64 v[27:28], v[37:38], -v[35:36]
	v_fma_f64 v[16:17], v[16:17], s[0:1], v[55:56]
	v_fma_f64 v[21:22], v[24:25], v[27:28], v[22:23]
	global_load_dwordx2 v[23:24], v[59:60], off offset:16
	v_add_u32_e32 v59, s27, v39
	v_add3_u32 v18, v59, v42, v32
	v_add_u32_e32 v27, s28, v18
	v_ashrrev_i32_e32 v28, 31, v27
	v_lshlrev_b64 v[50:51], 3, v[27:28]
	v_mov_b32_e32 v28, s9
	s_waitcnt vmcnt(0)
	v_add_f64 v[23:24], v[23:24], -v[35:36]
	v_fma_f64 v[0:1], v[16:17], v[23:24], v[21:22]
	v_ashrrev_i32_e32 v21, 31, v20
	v_lshlrev_b64 v[37:38], 3, v[20:21]
	v_add_u32_e32 v22, s28, v41
	v_ashrrev_i32_e32 v23, 31, v22
	v_mov_b32_e32 v21, s9
	v_add_co_u32_e32 v20, vcc, s8, v37
	v_lshlrev_b64 v[46:47], 3, v[22:23]
	v_add_u32_e32 v24, s28, v45
	v_addc_co_u32_e32 v21, vcc, v21, v38, vcc
	v_ashrrev_i32_e32 v25, 31, v24
	v_mov_b32_e32 v23, s9
	v_add_co_u32_e32 v22, vcc, s8, v46
	v_lshlrev_b64 v[48:49], 3, v[24:25]
	v_addc_co_u32_e32 v23, vcc, v23, v47, vcc
	v_mov_b32_e32 v25, s9
	v_add_co_u32_e32 v24, vcc, s8, v48
	v_addc_co_u32_e32 v25, vcc, v25, v49, vcc
	buffer_store_dword v0, off, s[44:47], 0 offset:368 ; 4-byte Folded Spill
	s_nop 0
	buffer_store_dword v1, off, s[44:47], 0 offset:372 ; 4-byte Folded Spill
	v_add_co_u32_e32 v27, vcc, s8, v50
	v_addc_co_u32_e32 v28, vcc, v28, v51, vcc
	global_load_dwordx2 v[20:21], v[20:21], off
	s_nop 0
	global_load_dwordx2 v[22:23], v[22:23], off
	s_nop 0
	global_load_dwordx2 v[52:53], v[24:25], off
	global_load_dwordx2 v[54:55], v[27:28], off
	s_waitcnt vmcnt(3)
	v_add_f64 v[0:1], v[20:21], -v[35:36]
	buffer_store_dword v0, off, s[44:47], 0 offset:392 ; 4-byte Folded Spill
	s_nop 0
	buffer_store_dword v1, off, s[44:47], 0 offset:396 ; 4-byte Folded Spill
	s_waitcnt vmcnt(4)
	v_add_f64 v[0:1], v[22:23], -v[35:36]
	buffer_store_dword v0, off, s[44:47], 0 offset:400 ; 4-byte Folded Spill
	s_nop 0
	buffer_store_dword v1, off, s[44:47], 0 offset:404 ; 4-byte Folded Spill
	;; [unrolled: 5-line block ×3, first 2 shown]
	s_waitcnt vmcnt(6)
	v_add_f64 v[0:1], v[54:55], -v[35:36]
	v_mov_b32_e32 v36, s15
	v_add_co_u32_e32 v35, vcc, s14, v37
	v_addc_co_u32_e32 v36, vcc, v36, v38, vcc
	buffer_store_dword v0, off, s[44:47], 0 offset:376 ; 4-byte Folded Spill
	s_nop 0
	buffer_store_dword v1, off, s[44:47], 0 offset:380 ; 4-byte Folded Spill
	v_mov_b32_e32 v38, s15
	v_add_co_u32_e32 v37, vcc, s14, v46
	v_addc_co_u32_e32 v38, vcc, v38, v47, vcc
	v_add_u32_e32 v0, v32, v31
	v_add_co_u32_e32 v46, vcc, s14, v48
	v_add_u32_e32 v48, v0, v14
	v_addc_co_u32_e32 v47, vcc, v40, v49, vcc
	v_ashrrev_i32_e32 v49, 31, v48
	v_lshlrev_b64 v[48:49], 3, v[48:49]
	buffer_store_dword v0, off, s[44:47], 0 offset:312 ; 4-byte Folded Spill
	v_mov_b32_e32 v31, s11
	v_add_co_u32_e32 v53, vcc, s10, v48
	v_add_u32_e32 v0, v32, v33
	v_addc_co_u32_e32 v54, vcc, v31, v49, vcc
	buffer_store_dword v0, off, s[44:47], 0 offset:272 ; 4-byte Folded Spill
	v_add_u32_e32 v55, v0, v14
	v_add_u32_e32 v0, v32, v39
	buffer_store_dword v0, off, s[44:47], 0 offset:280 ; 4-byte Folded Spill
	v_add_u32_e32 v60, v0, v14
	global_load_dwordx2 v[0:1], v[53:54], off
	v_ashrrev_i32_e32 v56, 31, v55
	v_mov_b32_e32 v31, s13
	v_add_co_u32_e32 v48, vcc, s12, v48
	v_lshlrev_b64 v[55:56], 3, v[55:56]
	v_addc_co_u32_e32 v49, vcc, v31, v49, vcc
	v_mov_b32_e32 v31, s11
	v_add_co_u32_e32 v57, vcc, s10, v55
	v_addc_co_u32_e32 v58, vcc, v31, v56, vcc
	v_ashrrev_i32_e32 v61, 31, v60
	v_mov_b32_e32 v31, s13
	v_add_co_u32_e32 v55, vcc, s12, v55
	v_lshlrev_b64 v[60:61], 3, v[60:61]
	v_addc_co_u32_e32 v56, vcc, v31, v56, vcc
	v_mov_b32_e32 v31, s11
	v_add_co_u32_e32 v62, vcc, s10, v60
	s_waitcnt vmcnt(0)
	buffer_store_dword v0, off, s[44:47], 0 offset:152 ; 4-byte Folded Spill
	s_nop 0
	buffer_store_dword v1, off, s[44:47], 0 offset:156 ; 4-byte Folded Spill
	v_addc_co_u32_e32 v63, vcc, v31, v61, vcc
	global_load_dwordx2 v[39:40], v[48:49], off
	global_load_dwordx2 v[24:25], v[35:36], off
	;; [unrolled: 1-line block ×3, first 2 shown]
	v_mov_b32_e32 v31, s13
	v_add_co_u32_e32 v60, vcc, s12, v60
	v_addc_co_u32_e32 v61, vcc, v31, v61, vcc
	s_waitcnt vmcnt(0)
	buffer_store_dword v15, off, s[44:47], 0 offset:112 ; 4-byte Folded Spill
	s_nop 0
	buffer_store_dword v16, off, s[44:47], 0 offset:116 ; 4-byte Folded Spill
	global_load_dwordx2 v[10:11], v[60:61], off
	global_load_dwordx2 v[27:28], v[46:47], off
	;; [unrolled: 1-line block ×3, first 2 shown]
	s_waitcnt vmcnt(0)
	buffer_store_dword v19, off, s[44:47], 0 offset:128 ; 4-byte Folded Spill
	s_nop 0
	buffer_store_dword v20, off, s[44:47], 0 offset:132 ; 4-byte Folded Spill
	global_load_dwordx2 v[12:13], v[55:56], off
	global_load_dwordx2 v[43:44], v[37:38], off
	s_nop 0
	buffer_store_dword v39, off, s[44:47], 0 offset:160 ; 4-byte Folded Spill
	s_nop 0
	buffer_store_dword v40, off, s[44:47], 0 offset:164 ; 4-byte Folded Spill
	v_mul_f64 v[55:56], v[2:3], v[29:30]
	v_add_u32_e32 v62, s33, v34
	v_ashrrev_i32_e32 v63, 31, v62
	v_mov_b32_e32 v33, s9
	v_fma_f64 v[35:36], v[0:1], 2.0, v[39:40]
	buffer_store_dword v35, off, s[44:47], 0 offset:624 ; 4-byte Folded Spill
	s_nop 0
	buffer_store_dword v36, off, s[44:47], 0 offset:628 ; 4-byte Folded Spill
	buffer_store_dword v10, off, s[44:47], 0 offset:136 ; 4-byte Folded Spill
	s_nop 0
	buffer_store_dword v11, off, s[44:47], 0 offset:140 ; 4-byte Folded Spill
	v_mul_f64 v[35:36], v[24:25], v[35:36]
	v_fma_f64 v[10:11], v[15:16], 2.0, v[10:11]
	buffer_store_dword v10, off, s[44:47], 0 offset:616 ; 4-byte Folded Spill
	s_nop 0
	buffer_store_dword v11, off, s[44:47], 0 offset:620 ; 4-byte Folded Spill
	s_waitcnt vmcnt(9)
	buffer_store_dword v12, off, s[44:47], 0 offset:144 ; 4-byte Folded Spill
	s_nop 0
	buffer_store_dword v13, off, s[44:47], 0 offset:148 ; 4-byte Folded Spill
	v_mul_f64 v[46:47], v[24:25], v[35:36]
	v_mul_f64 v[35:36], v[27:28], v[10:11]
	v_fma_f64 v[10:11], v[19:20], 2.0, v[12:13]
	buffer_store_dword v10, off, s[44:47], 0 offset:608 ; 4-byte Folded Spill
	s_nop 0
	buffer_store_dword v11, off, s[44:47], 0 offset:612 ; 4-byte Folded Spill
	v_mul_f64 v[48:49], v[27:28], v[35:36]
	v_mul_f64 v[57:58], v[4:5], v[48:49]
	s_waitcnt vmcnt(12)
	v_mul_f64 v[35:36], v[43:44], v[10:11]
	buffer_load_dword v10, off, s[44:47], 0 offset:16 ; 4-byte Folded Reload
	buffer_load_dword v11, off, s[44:47], 0 offset:20 ; 4-byte Folded Reload
	v_mul_f64 v[53:54], v[43:44], v[35:36]
	s_waitcnt vmcnt(0)
	global_load_dwordx4 v[20:23], v[10:11], off offset:-16
	s_waitcnt vmcnt(0)
	v_fma_f64 v[29:30], v[20:21], v[46:47], v[57:58]
	v_fma_f64 v[35:36], v[22:23], v[53:54], v[55:56]
	v_mul_f64 v[53:54], v[22:23], v[53:54]
	v_fma_f64 v[46:47], v[20:21], v[46:47], v[55:56]
	v_fma_f64 v[60:61], v[35:36], s[2:3], v[29:30]
	v_lshlrev_b64 v[30:31], 3, v[62:63]
	v_mov_b32_e32 v29, s9
	v_add_co_u32_e32 v39, vcc, s8, v30
	buffer_store_dword v30, off, s[44:47], 0 offset:80 ; 4-byte Folded Spill
	s_nop 0
	buffer_store_dword v31, off, s[44:47], 0 offset:84 ; 4-byte Folded Spill
	buffer_store_dword v41, off, s[44:47], 0 offset:648 ; 4-byte Folded Spill
	v_fma_f64 v[46:47], v[46:47], s[0:1], v[53:54]
	v_addc_co_u32_e32 v40, vcc, v29, v31, vcc
	v_add_u32_e32 v29, s33, v41
	v_ashrrev_i32_e32 v30, 31, v29
	v_lshlrev_b64 v[35:36], 3, v[29:30]
	v_mov_b32_e32 v31, s9
	v_add_co_u32_e32 v30, vcc, s8, v35
	buffer_store_dword v35, off, s[44:47], 0 offset:640 ; 4-byte Folded Spill
	s_nop 0
	buffer_store_dword v36, off, s[44:47], 0 offset:644 ; 4-byte Folded Spill
	v_addc_co_u32_e32 v31, vcc, v31, v36, vcc
	global_load_dwordx2 v[30:31], v[30:31], off
	s_nop 0
	global_load_dwordx4 v[35:38], v[39:40], off offset:-8
	s_waitcnt vmcnt(0)
	v_add_f64 v[30:31], v[30:31], -v[37:38]
	buffer_store_dword v26, off, s[44:47], 0 offset:652 ; 4-byte Folded Spill
	v_mul_f64 v[60:61], v[30:31], v[60:61]
	v_add_u32_e32 v30, s33, v26
	v_ashrrev_i32_e32 v31, 31, v30
	v_lshlrev_b64 v[0:1], 3, v[30:31]
	v_mov_b32_e32 v31, s15
	v_add_co_u32_e32 v41, vcc, s8, v0
	buffer_store_dword v0, off, s[44:47], 0 offset:744 ; 4-byte Folded Spill
	s_nop 0
	buffer_store_dword v1, off, s[44:47], 0 offset:748 ; 4-byte Folded Spill
	v_add_u32_e32 v0, v32, v59
	buffer_store_dword v0, off, s[44:47], 0 offset:328 ; 4-byte Folded Spill
	v_addc_co_u32_e32 v42, vcc, v33, v1, vcc
	global_load_dwordx2 v[41:42], v[41:42], off
	v_add_co_u32_e32 v50, vcc, s14, v50
	v_addc_co_u32_e32 v51, vcc, v31, v51, vcc
	v_add_u32_e32 v31, v0, v14
	v_ashrrev_i32_e32 v32, 31, v31
	v_lshlrev_b64 v[31:32], 3, v[31:32]
	v_mov_b32_e32 v33, s11
	s_waitcnt vmcnt(0)
	v_add_f64 v[41:42], v[41:42], -v[37:38]
	v_fma_f64 v[41:42], v[41:42], v[46:47], v[60:61]
	v_add_co_u32_e32 v60, vcc, s10, v31
	v_addc_co_u32_e32 v61, vcc, v33, v32, vcc
	global_load_dwordx2 v[0:1], v[60:61], off
	v_mov_b32_e32 v33, s13
	v_add_co_u32_e32 v31, vcc, s12, v31
	v_addc_co_u32_e32 v32, vcc, v33, v32, vcc
	s_waitcnt vmcnt(0)
	buffer_store_dword v0, off, s[44:47], 0 offset:184 ; 4-byte Folded Spill
	s_nop 0
	buffer_store_dword v1, off, s[44:47], 0 offset:188 ; 4-byte Folded Spill
	global_load_dwordx2 v[31:32], v[31:32], off
	s_nop 0
	global_load_dwordx2 v[51:52], v[50:51], off
	s_nop 0
	global_load_dwordx2 v[16:17], v[10:11], off offset:16
	s_waitcnt vmcnt(2)
	buffer_store_dword v31, off, s[44:47], 0 offset:176 ; 4-byte Folded Spill
	s_nop 0
	buffer_store_dword v32, off, s[44:47], 0 offset:180 ; 4-byte Folded Spill
	v_fma_f64 v[47:48], v[4:5], v[48:49], v[55:56]
	v_mov_b32_e32 v33, s9
	v_fma_f64 v[14:15], v[0:1], 2.0, v[31:32]
	buffer_store_dword v14, off, s[44:47], 0 offset:680 ; 4-byte Folded Spill
	s_nop 0
	buffer_store_dword v15, off, s[44:47], 0 offset:684 ; 4-byte Folded Spill
	buffer_store_dword v45, off, s[44:47], 0 offset:656 ; 4-byte Folded Spill
	s_waitcnt vmcnt(6)
	v_mul_f64 v[14:15], v[51:52], v[14:15]
	v_mul_f64 v[14:15], v[51:52], v[14:15]
	s_waitcnt vmcnt(5)
	v_fma_f64 v[31:32], v[16:17], v[14:15], v[53:54]
	v_fma_f64 v[14:15], v[16:17], v[14:15], v[55:56]
	;; [unrolled: 1-line block ×3, first 2 shown]
	v_add_u32_e32 v31, s33, v45
	v_ashrrev_i32_e32 v32, 31, v31
	v_lshlrev_b64 v[53:54], 3, v[31:32]
	v_mov_b32_e32 v32, s9
	v_add_co_u32_e32 v49, vcc, s8, v53
	buffer_store_dword v53, off, s[44:47], 0 offset:668 ; 4-byte Folded Spill
	s_nop 0
	buffer_store_dword v54, off, s[44:47], 0 offset:672 ; 4-byte Folded Spill
	v_add_u32_e32 v53, s33, v18
	buffer_store_dword v18, off, s[44:47], 0 offset:676 ; 4-byte Folded Spill
	v_fma_f64 v[14:15], v[14:15], s[0:1], v[57:58]
	v_addc_co_u32_e32 v50, vcc, v33, v54, vcc
	global_load_dwordx2 v[49:50], v[49:50], off
	v_ashrrev_i32_e32 v54, 31, v53
	v_lshlrev_b64 v[18:19], 3, v[53:54]
	s_waitcnt vmcnt(0)
	v_add_f64 v[49:50], v[49:50], -v[37:38]
	v_fma_f64 v[41:42], v[49:50], v[47:48], v[41:42]
	v_add_co_u32_e32 v47, vcc, s8, v18
	buffer_store_dword v18, off, s[44:47], 0 offset:760 ; 4-byte Folded Spill
	s_nop 0
	buffer_store_dword v19, off, s[44:47], 0 offset:764 ; 4-byte Folded Spill
	v_addc_co_u32_e32 v48, vcc, v32, v19, vcc
	global_load_dwordx2 v[47:48], v[47:48], off
	v_mov_b32_e32 v32, s34
	s_waitcnt vmcnt(0)
	v_add_f64 v[47:48], v[47:48], -v[37:38]
	v_fma_f64 v[0:1], v[47:48], v[14:15], v[41:42]
	buffer_store_dword v0, off, s[44:47], 0 offset:408 ; 4-byte Folded Spill
	s_nop 0
	buffer_store_dword v1, off, s[44:47], 0 offset:412 ; 4-byte Folded Spill
	v_ashrrev_i32_e32 v0, 31, v34
	v_add_co_u32_e32 v41, vcc, s33, v34
	v_addc_co_u32_e32 v42, vcc, v0, v32, vcc
	v_lshlrev_b64 v[41:42], 3, v[41:42]
	v_mov_b32_e32 v32, s9
	v_add_co_u32_e32 v41, vcc, s8, v41
	v_addc_co_u32_e32 v42, vcc, v32, v42, vcc
	v_mov_b32_e32 v32, s40
	buffer_store_dword v34, off, s[44:47], 0 offset:16 ; 4-byte Folded Spill
	v_add_co_u32_e32 v47, vcc, s35, v34
	buffer_store_dword v0, off, s[44:47], 0 offset:528 ; 4-byte Folded Spill
	v_addc_co_u32_e32 v48, vcc, v0, v32, vcc
	buffer_load_dword v10, off, s[44:47], 0 offset:200 ; 4-byte Folded Reload
	buffer_load_dword v11, off, s[44:47], 0 offset:204 ; 4-byte Folded Reload
	;; [unrolled: 1-line block ×6, first 2 shown]
	v_lshlrev_b64 v[47:48], 3, v[47:48]
	v_mov_b32_e32 v32, s9
	v_add_co_u32_e32 v54, vcc, s8, v47
	v_addc_co_u32_e32 v55, vcc, v32, v48, vcc
	v_add_f64 v[34:35], v[35:36], -v[37:38]
	s_waitcnt vmcnt(0)
	v_mul_f64 v[18:19], v[0:1], v[10:11]
	buffer_load_dword v56, off, s[44:47], 0 offset:48 ; 4-byte Folded Reload
	buffer_load_dword v57, off, s[44:47], 0 offset:52 ; 4-byte Folded Reload
	buffer_load_dword v58, off, s[44:47], 0 offset:56 ; 4-byte Folded Reload
	buffer_load_dword v59, off, s[44:47], 0 offset:60 ; 4-byte Folded Reload
	buffer_load_dword v0, off, s[44:47], 0 offset:264 ; 4-byte Folded Reload
	buffer_load_dword v1, off, s[44:47], 0 offset:268 ; 4-byte Folded Reload
	v_mul_f64 v[18:19], v[10:11], v[18:19]
	v_mul_f64 v[60:61], v[6:7], v[18:19]
	;; [unrolled: 1-line block ×3, first 2 shown]
	s_waitcnt vmcnt(0)
	v_mul_f64 v[47:48], v[0:1], v[56:57]
	buffer_load_dword v0, off, s[44:47], 0 offset:216 ; 4-byte Folded Reload
	buffer_load_dword v1, off, s[44:47], 0 offset:220 ; 4-byte Folded Reload
	v_mul_f64 v[10:11], v[56:57], v[47:48]
	s_waitcnt vmcnt(0)
	v_mul_f64 v[47:48], v[0:1], v[12:13]
	buffer_load_dword v0, off, s[44:47], 0 offset:256 ; 4-byte Folded Reload
	buffer_load_dword v1, off, s[44:47], 0 offset:260 ; 4-byte Folded Reload
	v_mul_f64 v[45:46], v[12:13], v[47:48]
	v_mul_f64 v[12:13], v[8:9], v[45:46]
	s_waitcnt vmcnt(0)
	v_mul_f64 v[47:48], v[0:1], v[58:59]
	v_mul_f64 v[0:1], v[58:59], v[47:48]
	buffer_load_dword v56, off, s[44:47], 0 offset:64 ; 4-byte Folded Reload
	buffer_load_dword v57, off, s[44:47], 0 offset:68 ; 4-byte Folded Reload
	;; [unrolled: 1-line block ×4, first 2 shown]
	s_waitcnt vmcnt(2)
	v_fma_f64 v[47:48], v[56:57], v[10:11], v[12:13]
	global_load_dwordx2 v[41:42], v[41:42], off offset:-16
	s_waitcnt vmcnt(1)
	v_fma_f64 v[49:50], v[58:59], v[0:1], v[60:61]
	v_fma_f64 v[32:33], v[49:50], s[2:3], v[47:48]
	global_load_dwordx4 v[47:50], v[39:40], off offset:8
	s_nop 0
	buffer_store_dword v0, off, s[44:47], 0 offset:784 ; 4-byte Folded Spill
	s_nop 0
	buffer_store_dword v1, off, s[44:47], 0 offset:788 ; 4-byte Folded Spill
	buffer_store_dword v10, off, s[44:47], 0 offset:792 ; 4-byte Folded Spill
	s_nop 0
	buffer_store_dword v11, off, s[44:47], 0 offset:796 ; 4-byte Folded Spill
	v_mul_f64 v[34:35], v[32:33], v[34:35]
	s_waitcnt vmcnt(5)
	v_add_f64 v[41:42], v[41:42], -v[37:38]
	s_waitcnt vmcnt(4)
	v_add_f64 v[39:40], v[47:48], -v[37:38]
	v_add_f64 v[14:15], v[49:50], -v[37:38]
	v_mul_f64 v[47:48], v[58:59], v[0:1]
	v_fma_f64 v[36:37], v[56:57], v[10:11], v[60:61]
	v_fma_f64 v[49:50], v[36:37], s[0:1], v[47:48]
	;; [unrolled: 1-line block ×3, first 2 shown]
	v_add_u32_e32 v34, s28, v62
	v_ashrrev_i32_e32 v35, 31, v34
	v_lshlrev_b64 v[35:36], 3, v[34:35]
	v_mov_b32_e32 v34, s9
	v_add_co_u32_e32 v62, vcc, s8, v35
	buffer_store_dword v35, off, s[44:47], 0 offset:88 ; 4-byte Folded Spill
	s_nop 0
	buffer_store_dword v36, off, s[44:47], 0 offset:92 ; 4-byte Folded Spill
	v_addc_co_u32_e32 v63, vcc, v34, v36, vcc
	global_load_dwordx4 v[34:37], v[62:63], off offset:-8
	s_waitcnt vmcnt(0)
	v_add_f64 v[34:35], v[34:35], -v[36:37]
	v_mul_f64 v[32:33], v[32:33], v[34:35]
	global_load_dwordx2 v[34:35], v[54:55], off offset:-16
	buffer_load_dword v10, off, s[44:47], 0 offset:232 ; 4-byte Folded Reload
	buffer_load_dword v11, off, s[44:47], 0 offset:236 ; 4-byte Folded Reload
	;; [unrolled: 1-line block ×4, first 2 shown]
	s_waitcnt vmcnt(4)
	v_add_f64 v[34:35], v[34:35], -v[36:37]
	v_fma_f64 v[32:33], v[49:50], v[34:35], v[32:33]
	s_waitcnt vmcnt(0)
	v_mul_f64 v[34:35], v[0:1], v[10:11]
	v_mul_f64 v[0:1], v[10:11], v[34:35]
	buffer_load_dword v10, off, s[44:47], 0 offset:240 ; 4-byte Folded Reload
	buffer_load_dword v11, off, s[44:47], 0 offset:244 ; 4-byte Folded Reload
	s_nop 0
	buffer_store_dword v45, off, s[44:47], 0 offset:776 ; 4-byte Folded Spill
	s_nop 0
	buffer_store_dword v46, off, s[44:47], 0 offset:780 ; 4-byte Folded Spill
	s_waitcnt vmcnt(2)
	v_fma_f64 v[34:35], v[10:11], v[0:1], v[47:48]
	v_fma_f64 v[47:48], v[8:9], v[45:46], v[60:61]
	buffer_load_dword v46, off, s[44:47], 0 offset:360 ; 4-byte Folded Reload
	v_fma_f64 v[34:35], v[47:48], s[2:3], v[34:35]
	global_load_dwordx4 v[47:50], v[62:63], off offset:8
	s_nop 0
	buffer_store_dword v0, off, s[44:47], 0 offset:816 ; 4-byte Folded Spill
	s_nop 0
	buffer_store_dword v1, off, s[44:47], 0 offset:820 ; 4-byte Folded Spill
	buffer_load_dword v54, off, s[44:47], 0 offset:24 ; 4-byte Folded Reload
	buffer_load_dword v55, off, s[44:47], 0 offset:28 ; 4-byte Folded Reload
	v_fma_f64 v[38:39], v[34:35], v[39:40], v[41:42]
	s_waitcnt vmcnt(4)
	v_add_f64 v[40:41], v[47:48], -v[36:37]
	v_fma_f64 v[32:33], v[34:35], v[40:41], v[32:33]
	v_fma_f64 v[34:35], v[10:11], v[0:1], v[60:61]
	buffer_load_dword v0, off, s[44:47], 0 offset:152 ; 4-byte Folded Reload
	buffer_load_dword v1, off, s[44:47], 0 offset:156 ; 4-byte Folded Reload
	v_add_f64 v[40:41], v[49:50], -v[36:37]
	v_fma_f64 v[34:35], v[34:35], s[0:1], v[12:13]
	v_fma_f64 v[38:39], v[34:35], v[14:15], v[38:39]
	;; [unrolled: 1-line block ×3, first 2 shown]
	s_waitcnt vmcnt(0)
	v_mul_f64 v[34:35], v[0:1], v[24:25]
	buffer_store_dword v24, off, s[44:47], 0 offset:120 ; 4-byte Folded Spill
	s_nop 0
	buffer_store_dword v25, off, s[44:47], 0 offset:124 ; 4-byte Folded Spill
	buffer_load_dword v0, off, s[44:47], 0 offset:112 ; 4-byte Folded Reload
	buffer_load_dword v1, off, s[44:47], 0 offset:116 ; 4-byte Folded Reload
	v_mul_f64 v[10:11], v[24:25], v[34:35]
	s_waitcnt vmcnt(0)
	v_mul_f64 v[34:35], v[0:1], v[27:28]
	buffer_store_dword v27, off, s[44:47], 0 offset:96 ; 4-byte Folded Spill
	s_nop 0
	buffer_store_dword v28, off, s[44:47], 0 offset:100 ; 4-byte Folded Spill
	buffer_load_dword v0, off, s[44:47], 0 offset:128 ; 4-byte Folded Reload
	buffer_load_dword v1, off, s[44:47], 0 offset:132 ; 4-byte Folded Reload
	v_mul_f64 v[12:13], v[27:28], v[34:35]
	s_waitcnt vmcnt(0)
	v_mul_f64 v[34:35], v[0:1], v[43:44]
	buffer_store_dword v43, off, s[44:47], 0 offset:104 ; 4-byte Folded Spill
	s_nop 0
	buffer_store_dword v44, off, s[44:47], 0 offset:108 ; 4-byte Folded Spill
	v_mul_f64 v[0:1], v[43:44], v[34:35]
	v_mul_f64 v[34:35], v[4:5], v[12:13]
	v_fma_f64 v[47:48], v[22:23], v[0:1], v[18:19]
	buffer_store_dword v0, off, s[44:47], 0 offset:840 ; 4-byte Folded Spill
	s_nop 0
	buffer_store_dword v1, off, s[44:47], 0 offset:844 ; 4-byte Folded Spill
	v_fma_f64 v[40:41], v[20:21], v[10:11], v[34:35]
	v_fma_f64 v[40:41], v[47:48], s[2:3], v[40:41]
	v_mul_f64 v[47:48], v[22:23], v[0:1]
	buffer_store_dword v20, off, s[44:47], 0 offset:592 ; 4-byte Folded Spill
	s_nop 0
	buffer_store_dword v21, off, s[44:47], 0 offset:596 ; 4-byte Folded Spill
	buffer_store_dword v22, off, s[44:47], 0 offset:600 ; 4-byte Folded Spill
	;; [unrolled: 1-line block ×4, first 2 shown]
	s_nop 0
	buffer_store_dword v11, off, s[44:47], 0 offset:852 ; 4-byte Folded Spill
	buffer_load_dword v0, off, s[44:47], 0 offset:400 ; 4-byte Folded Reload
	buffer_load_dword v1, off, s[44:47], 0 offset:404 ; 4-byte Folded Reload
	v_fma_f64 v[49:50], v[20:21], v[10:11], v[18:19]
	s_waitcnt vmcnt(0)
	v_mul_f64 v[27:28], v[40:41], v[0:1]
	buffer_load_dword v0, off, s[44:47], 0 offset:392 ; 4-byte Folded Reload
	buffer_load_dword v1, off, s[44:47], 0 offset:396 ; 4-byte Folded Reload
	v_fma_f64 v[49:50], v[49:50], s[0:1], v[47:48]
	s_waitcnt vmcnt(0)
	v_fma_f64 v[24:25], v[49:50], v[0:1], v[27:28]
	v_add_u32_e32 v27, s28, v29
	v_ashrrev_i32_e32 v28, 31, v27
	v_lshlrev_b64 v[10:11], 3, v[27:28]
	v_add_u32_e32 v29, s28, v30
	v_add_co_u32_e32 v27, vcc, s8, v10
	buffer_store_dword v10, off, s[44:47], 0 offset:688 ; 4-byte Folded Spill
	s_nop 0
	buffer_store_dword v11, off, s[44:47], 0 offset:692 ; 4-byte Folded Spill
	v_ashrrev_i32_e32 v30, 31, v29
	v_mov_b32_e32 v28, s9
	v_lshlrev_b64 v[0:1], 3, v[29:30]
	v_mov_b32_e32 v30, s9
	v_addc_co_u32_e32 v28, vcc, v28, v11, vcc
	global_load_dwordx2 v[27:28], v[27:28], off
	v_add_co_u32_e32 v29, vcc, s8, v0
	buffer_store_dword v0, off, s[44:47], 0 offset:808 ; 4-byte Folded Spill
	s_nop 0
	buffer_store_dword v1, off, s[44:47], 0 offset:812 ; 4-byte Folded Spill
	s_waitcnt vmcnt(2)
	v_add_f64 v[27:28], v[27:28], -v[36:37]
	v_addc_co_u32_e32 v30, vcc, v30, v1, vcc
	global_load_dwordx2 v[29:30], v[29:30], off
	s_nop 0
	buffer_load_dword v0, off, s[44:47], 0 offset:184 ; 4-byte Folded Reload
	buffer_load_dword v1, off, s[44:47], 0 offset:188 ; 4-byte Folded Reload
	v_mul_f64 v[27:28], v[40:41], v[27:28]
	s_waitcnt vmcnt(2)
	v_add_f64 v[29:30], v[29:30], -v[36:37]
	v_fma_f64 v[27:28], v[49:50], v[29:30], v[27:28]
	s_waitcnt vmcnt(0)
	v_mul_f64 v[29:30], v[0:1], v[51:52]
	buffer_store_dword v51, off, s[44:47], 0 offset:168 ; 4-byte Folded Spill
	s_nop 0
	buffer_store_dword v52, off, s[44:47], 0 offset:172 ; 4-byte Folded Spill
	buffer_store_dword v12, off, s[44:47], 0 offset:832 ; 4-byte Folded Spill
	s_nop 0
	buffer_store_dword v13, off, s[44:47], 0 offset:836 ; 4-byte Folded Spill
	buffer_load_dword v0, off, s[44:47], 0 offset:384 ; 4-byte Folded Reload
	buffer_load_dword v1, off, s[44:47], 0 offset:388 ; 4-byte Folded Reload
	v_mul_f64 v[20:21], v[51:52], v[29:30]
	v_fma_f64 v[40:41], v[4:5], v[12:13], v[18:19]
	v_fma_f64 v[29:30], v[16:17], v[20:21], v[47:48]
	v_add_u32_e32 v47, -1, v54
	v_fma_f64 v[29:30], v[40:41], s[2:3], v[29:30]
	s_add_i32 s2, s26, s37
	s_add_i32 s42, s42, s2
	s_lshl_b32 s2, s39, 1
	s_mov_b32 s3, 1
	s_waitcnt vmcnt(0)
	v_fma_f64 v[22:23], v[29:30], v[0:1], v[24:25]
	v_add_u32_e32 v24, s28, v31
	v_ashrrev_i32_e32 v25, 31, v24
	v_lshlrev_b64 v[10:11], 3, v[24:25]
	v_mov_b32_e32 v25, s9
	v_add_co_u32_e32 v24, vcc, s8, v10
	buffer_store_dword v10, off, s[44:47], 0 offset:728 ; 4-byte Folded Spill
	s_nop 0
	buffer_store_dword v11, off, s[44:47], 0 offset:732 ; 4-byte Folded Spill
	v_addc_co_u32_e32 v25, vcc, v25, v11, vcc
	global_load_dwordx2 v[24:25], v[24:25], off
	s_waitcnt vmcnt(0)
	v_add_f64 v[24:25], v[24:25], -v[36:37]
	v_fma_f64 v[24:25], v[29:30], v[24:25], v[27:28]
	v_add_u32_e32 v27, s28, v53
	v_ashrrev_i32_e32 v28, 31, v27
	v_lshlrev_b64 v[0:1], 3, v[27:28]
	v_mov_b32_e32 v28, s9
	v_add_co_u32_e32 v27, vcc, s8, v0
	buffer_store_dword v0, off, s[44:47], 0 offset:824 ; 4-byte Folded Spill
	s_nop 0
	buffer_store_dword v1, off, s[44:47], 0 offset:828 ; 4-byte Folded Spill
	v_addc_co_u32_e32 v28, vcc, v28, v1, vcc
	global_load_dwordx2 v[27:28], v[27:28], off
	s_nop 0
	buffer_store_dword v16, off, s[44:47], 0 offset:660 ; 4-byte Folded Spill
	s_nop 0
	buffer_store_dword v17, off, s[44:47], 0 offset:664 ; 4-byte Folded Spill
	buffer_store_dword v20, off, s[44:47], 0 offset:856 ; 4-byte Folded Spill
	s_nop 0
	buffer_store_dword v21, off, s[44:47], 0 offset:860 ; 4-byte Folded Spill
	buffer_load_dword v0, off, s[44:47], 0 offset:376 ; 4-byte Folded Reload
	buffer_load_dword v1, off, s[44:47], 0 offset:380 ; 4-byte Folded Reload
	v_fma_f64 v[18:19], v[16:17], v[20:21], v[18:19]
	s_waitcnt vmcnt(6)
	v_add_f64 v[27:28], v[27:28], -v[36:37]
	v_fma_f64 v[18:19], v[18:19], s[0:1], v[34:35]
	s_mov_b32 s0, 0x55555555
	s_mov_b32 s1, 0x3fc55555
	s_waitcnt vmcnt(0)
	v_fma_f64 v[20:21], v[18:19], v[0:1], v[22:23]
	buffer_load_dword v0, off, s[44:47], 0 offset:352 ; 4-byte Folded Reload
	buffer_load_dword v1, off, s[44:47], 0 offset:356 ; 4-byte Folded Reload
	s_waitcnt lgkmcnt(0)
	v_mov_b32_e32 v22, s17
	v_fma_f64 v[18:19], v[18:19], v[27:28], v[24:25]
	s_lshl_b32 s17, s38, 1
	s_sub_i32 s17, s39, s17
	s_add_i32 s17, s17, 1
	s_mul_i32 s17, s43, s17
	s_waitcnt vmcnt(1)
	v_add_co_u32_e32 v12, vcc, s16, v0
	s_waitcnt vmcnt(0)
	v_addc_co_u32_e32 v13, vcc, v22, v1, vcc
	buffer_load_dword v0, off, s[44:47], 0 offset:32 ; 4-byte Folded Reload
	buffer_load_dword v1, off, s[44:47], 0 offset:36 ; 4-byte Folded Reload
	s_sub_i32 s16, 0, s30
	s_waitcnt vmcnt(0)
	v_div_fixup_f64 v[55:56], v[0:1], v[2:3], 1.0
	buffer_load_dword v0, off, s[44:47], 0 offset:368 ; 4-byte Folded Reload
	buffer_load_dword v1, off, s[44:47], 0 offset:372 ; 4-byte Folded Reload
	s_waitcnt vmcnt(0)
	v_mul_f64 v[10:11], v[0:1], s[0:1]
	buffer_load_dword v0, off, s[44:47], 0 offset:40 ; 4-byte Folded Reload
	buffer_load_dword v1, off, s[44:47], 0 offset:44 ; 4-byte Folded Reload
	s_waitcnt vmcnt(0)
	v_div_fixup_f64 v[57:58], v[0:1], v[6:7], 1.0
	v_fma_f64 v[0:1], v[55:56], v[10:11], 0
	v_mul_f64 v[10:11], v[20:21], s[0:1]
	v_fma_f64 v[44:45], v[57:58], v[10:11], v[0:1]
	buffer_load_dword v10, off, s[44:47], 0 offset:408 ; 4-byte Folded Reload
	buffer_load_dword v11, off, s[44:47], 0 offset:412 ; 4-byte Folded Reload
	v_mul_f64 v[0:1], v[38:39], s[0:1]
	v_fma_f64 v[0:1], v[55:56], v[0:1], 0
	s_waitcnt vmcnt(0)
	v_mul_f64 v[10:11], v[10:11], s[0:1]
	v_fma_f64 v[52:53], v[57:58], v[10:11], v[0:1]
	v_mul_f64 v[0:1], v[32:33], s[0:1]
	v_mul_f64 v[10:11], v[18:19], s[0:1]
	s_load_dwordx2 s[0:1], s[4:5], 0x80
	v_fma_f64 v[0:1], v[55:56], v[0:1], 0
	v_fma_f64 v[42:43], v[57:58], v[10:11], v[0:1]
	global_load_dwordx2 v[0:1], v[12:13], off
	s_waitcnt vmcnt(0)
	buffer_store_dword v0, off, s[44:47], 0 offset:584 ; 4-byte Folded Spill
	s_nop 0
	buffer_store_dword v1, off, s[44:47], 0 offset:588 ; 4-byte Folded Spill
	buffer_load_dword v0, off, s[44:47], 0 offset:344 ; 4-byte Folded Reload
	s_waitcnt vmcnt(0)
	v_add_u32_e32 v12, s25, v0
	buffer_load_dword v0, off, s[44:47], 0 offset:336 ; 4-byte Folded Reload
	s_waitcnt vmcnt(0)
	v_add_u32_e32 v11, s42, v0
	v_add_u32_e32 v0, s17, v11
	s_mul_i32 s17, s38, 3
	s_sub_i32 s2, s2, s17
	s_add_i32 s2, s2, 2
	s_mul_i32 s2, s2, s43
	v_add_u32_e32 v1, s2, v11
	buffer_store_dword v0, off, s[44:47], 0 offset:884 ; 4-byte Folded Spill
	v_subrev_u32_e32 v0, s36, v0
	buffer_store_dword v1, off, s[44:47], 0 offset:888 ; 4-byte Folded Spill
	v_subrev_u32_e32 v1, s36, v1
	v_mul_lo_u32 v0, s27, v0
	v_mul_lo_u32 v1, s27, v1
	s_mul_i32 s2, s39, 3
	s_lshl_b32 s17, s38, 2
	s_sub_i32 s2, s2, s17
	s_add_i32 s2, s2, 3
	s_mul_i32 s2, s2, s43
	v_add_u32_e32 v10, s2, v11
	s_mul_i32 s2, s38, s43
	v_add3_u32 v59, v0, s27, v12
	v_add3_u32 v60, v1, s27, v12
	v_mul_f64 v[0:1], v[57:58], v[55:56]
	buffer_store_dword v11, off, s[44:47], 0 offset:892 ; 4-byte Folded Spill
	v_subrev_u32_e32 v11, s2, v11
	v_subrev_u32_e32 v10, s36, v10
	;; [unrolled: 1-line block ×3, first 2 shown]
	v_mul_lo_u32 v10, s27, v10
	v_mul_lo_u32 v11, s27, v11
	buffer_store_dword v12, off, s[44:47], 0 offset:880 ; 4-byte Folded Spill
	buffer_store_dword v0, off, s[44:47], 0 offset:928 ; 4-byte Folded Spill
	s_nop 0
	buffer_store_dword v1, off, s[44:47], 0 offset:932 ; 4-byte Folded Spill
	v_add3_u32 v61, v10, s27, v12
	v_add3_u32 v62, v11, s27, v12
.LBB0_2:                                ; =>This Loop Header: Depth=1
                                        ;     Child Loop BB0_3 Depth 2
	v_mov_b32_e32 v10, 0
	v_mov_b32_e32 v20, 0
	;; [unrolled: 1-line block ×7, first 2 shown]
	v_add_u32_e32 v48, s6, v62
	v_add_u32_e32 v49, s6, v61
	;; [unrolled: 1-line block ×4, first 2 shown]
	v_mov_b32_e32 v21, 0
	v_mov_b32_e32 v17, 0
	;; [unrolled: 1-line block ×5, first 2 shown]
	s_mov_b32 s17, 0
.LBB0_3:                                ;   Parent Loop BB0_2 Depth=1
                                        ; =>  This Inner Loop Header: Depth=2
	v_add_u32_e32 v18, s17, v47
	v_ashrrev_i32_e32 v19, 31, v18
	v_lshlrev_b64 v[18:19], 3, v[18:19]
	v_mov_b32_e32 v24, s21
	v_add_co_u32_e32 v18, vcc, s20, v18
	v_addc_co_u32_e32 v19, vcc, v24, v19, vcc
	global_load_dwordx2 v[24:25], v[18:19], off
	v_add_u32_e32 v18, s16, v48
	v_ashrrev_i32_e32 v19, 31, v18
	v_lshlrev_b64 v[26:27], 3, v[18:19]
	v_mov_b32_e32 v19, s11
	v_add_co_u32_e32 v18, vcc, s10, v26
	v_addc_co_u32_e32 v19, vcc, v19, v27, vcc
	v_add_co_u32_e32 v26, vcc, s12, v26
	v_mov_b32_e32 v28, s13
	v_addc_co_u32_e32 v27, vcc, v28, v27, vcc
	global_load_dwordx2 v[18:19], v[18:19], off
	v_mov_b32_e32 v34, s15
	global_load_dwordx2 v[28:29], v[26:27], off
	v_add_u32_e32 v26, s16, v1
	v_ashrrev_i32_e32 v27, 31, v26
	v_lshlrev_b64 v[26:27], 3, v[26:27]
	v_add_u32_e32 v40, s16, v49
	v_add_co_u32_e32 v26, vcc, s14, v26
	v_addc_co_u32_e32 v27, vcc, v34, v27, vcc
	global_load_dwordx2 v[26:27], v[26:27], off
	v_ashrrev_i32_e32 v41, 31, v40
	v_lshlrev_b64 v[40:41], 3, v[40:41]
	s_add_i32 s17, s17, 48
	v_add_u32_e32 v1, s7, v1
	v_add_u32_e32 v49, s7, v49
	v_add_u32_e32 v48, s7, v48
	s_cmpk_eq_i32 s17, 0x180
	s_waitcnt vmcnt(1)
	v_fma_f64 v[32:33], v[18:19], 2.0, v[28:29]
	s_waitcnt vmcnt(0)
	v_mul_f64 v[30:31], v[32:33], v[26:27]
	v_mul_f64 v[30:31], v[6:7], v[30:31]
	;; [unrolled: 1-line block ×3, first 2 shown]
	v_add_u32_e32 v30, s16, v0
	v_ashrrev_i32_e32 v31, 31, v30
	v_lshlrev_b64 v[30:31], 3, v[30:31]
	v_add_u32_e32 v0, s7, v0
	v_add_co_u32_e32 v30, vcc, s14, v30
	v_addc_co_u32_e32 v31, vcc, v34, v31, vcc
	global_load_dwordx2 v[30:31], v[30:31], off
	v_add_co_u32_e32 v40, vcc, s14, v40
	v_addc_co_u32_e32 v41, vcc, v34, v41, vcc
	s_waitcnt vmcnt(0)
	v_mul_f64 v[35:36], v[2:3], v[30:31]
	v_mul_f64 v[35:36], v[30:31], v[35:36]
	;; [unrolled: 1-line block ×3, first 2 shown]
	global_load_dwordx2 v[34:35], v[40:41], off
	s_waitcnt vmcnt(0)
	v_fma_f64 v[50:51], v[34:35], v[34:35], v[36:37]
	v_mul_f64 v[40:41], v[34:35], v[34:35]
	v_mul_f64 v[50:51], v[18:19], v[50:51]
	v_fma_f64 v[38:39], v[6:7], v[38:39], v[50:51]
	v_mul_f64 v[50:51], v[6:7], v[26:27]
	v_fma_f64 v[22:23], v[24:25], v[38:39], v[22:23]
	v_mul_f64 v[38:39], v[32:33], v[30:31]
	v_mul_f64 v[50:51], v[26:27], v[50:51]
	;; [unrolled: 1-line block ×4, first 2 shown]
	v_fma_f64 v[40:41], v[6:7], v[50:51], v[40:41]
	v_fma_f64 v[36:37], v[6:7], v[50:51], v[36:37]
	v_mul_f64 v[38:39], v[30:31], v[38:39]
	v_mul_f64 v[40:41], v[18:19], v[40:41]
	;; [unrolled: 1-line block ×3, first 2 shown]
	v_add_f64 v[18:19], v[18:19], v[28:29]
	v_fma_f64 v[38:39], v[2:3], v[38:39], v[40:41]
	v_fma_f64 v[32:33], v[34:35], v[32:33], v[36:37]
	v_mul_f64 v[18:19], v[24:25], v[18:19]
	v_fma_f64 v[20:21], v[24:25], v[38:39], v[20:21]
	v_fma_f64 v[10:11], v[24:25], v[32:33], v[10:11]
	v_mul_f64 v[24:25], v[26:27], v[18:19]
	v_mul_f64 v[18:19], v[18:19], v[30:31]
	v_fma_f64 v[12:13], v[30:31], v[24:25], v[12:13]
	v_fma_f64 v[14:15], v[24:25], v[34:35], v[14:15]
	;; [unrolled: 1-line block ×3, first 2 shown]
	s_cbranch_scc0 .LBB0_3
; %bb.4:                                ;   in Loop: Header=BB0_2 Depth=1
	s_mul_i32 s17, s3, s7
	v_add_u32_e32 v0, s17, v46
	v_add_u32_e32 v18, s28, v0
	v_ashrrev_i32_e32 v19, 31, v18
	v_lshlrev_b64 v[24:25], 3, v[18:19]
	v_mov_b32_e32 v26, s9
	v_add_co_u32_e32 v24, vcc, s8, v24
	v_addc_co_u32_e32 v25, vcc, v26, v25, vcc
	global_load_dwordx2 v[24:25], v[24:25], off
	v_ashrrev_i32_e32 v1, 31, v0
	v_lshlrev_b64 v[0:1], 3, v[0:1]
	v_add_u32_e32 v18, s28, v18
	v_ashrrev_i32_e32 v19, 31, v18
	v_add_co_u32_e32 v0, vcc, s8, v0
	v_lshlrev_b64 v[18:19], 3, v[18:19]
	v_addc_co_u32_e32 v1, vcc, v26, v1, vcc
	v_add_co_u32_e32 v18, vcc, s8, v18
	v_addc_co_u32_e32 v19, vcc, v26, v19, vcc
	global_load_dwordx2 v[18:19], v[18:19], off
	s_nop 0
	global_load_dwordx2 v[0:1], v[0:1], off
	v_mul_f64 v[28:29], v[57:58], v[55:56]
	v_mul_f64 v[16:17], v[57:58], v[16:17]
	;; [unrolled: 1-line block ×3, first 2 shown]
	s_add_i32 s3, s3, 1
	s_cmp_eq_u32 s3, 9
	v_add_u32_e32 v47, 6, v47
	v_mul_f64 v[20:21], v[28:29], v[20:21]
	v_mul_f64 v[22:23], v[28:29], v[22:23]
	;; [unrolled: 1-line block ×3, first 2 shown]
	s_waitcnt vmcnt(2)
	v_mul_f64 v[26:27], v[12:13], v[24:25]
	v_mul_f64 v[20:21], v[20:21], v[24:25]
	;; [unrolled: 1-line block ×3, first 2 shown]
	s_waitcnt vmcnt(0)
	v_fma_f64 v[22:23], v[22:23], v[0:1], v[26:27]
	v_fma_f64 v[12:13], v[12:13], v[0:1], v[20:21]
	;; [unrolled: 1-line block ×6, first 2 shown]
	v_add_f64 v[44:45], v[44:45], v[14:15]
	v_add_f64 v[52:53], v[52:53], v[12:13]
	;; [unrolled: 1-line block ×3, first 2 shown]
	s_cbranch_scc0 .LBB0_2
; %bb.5:
	buffer_store_dword v62, off, s[44:47], 0 offset:876 ; 4-byte Folded Spill
	buffer_store_dword v61, off, s[44:47], 0 offset:872 ; 4-byte Folded Spill
	;; [unrolled: 1-line block ×5, first 2 shown]
	s_nop 0
	buffer_store_dword v53, off, s[44:47], 0 offset:724 ; 4-byte Folded Spill
	buffer_store_dword v44, off, s[44:47], 0 offset:712 ; 4-byte Folded Spill
	s_nop 0
	buffer_store_dword v45, off, s[44:47], 0 offset:716 ; 4-byte Folded Spill
	buffer_store_dword v42, off, s[44:47], 0 offset:632 ; 4-byte Folded Spill
	;; [unrolled: 3-line block ×4, first 2 shown]
	s_nop 0
	buffer_store_dword v56, off, s[44:47], 0 offset:36 ; 4-byte Folded Spill
	buffer_load_dword v0, off, s[44:47], 0 offset:288 ; 4-byte Folded Reload
	buffer_load_dword v1, off, s[44:47], 0 offset:304 ; 4-byte Folded Reload
	v_ashrrev_i32_e32 v55, 31, v54
	s_waitcnt lgkmcnt(0)
	v_mov_b32_e32 v14, s1
	v_mov_b32_e32 v17, s9
	;; [unrolled: 1-line block ×5, first 2 shown]
	s_mov_b32 s1, s7
	buffer_load_dword v11, off, s[44:47], 0 offset:320 ; 4-byte Folded Reload
	s_waitcnt vmcnt(2)
	v_add_u32_e32 v10, s41, v0
	buffer_load_dword v0, off, s[44:47], 0 offset:296 ; 4-byte Folded Reload
	s_nop 0
	buffer_store_dword v54, off, s[44:47], 0 offset:24 ; 4-byte Folded Spill
	s_nop 0
	buffer_store_dword v55, off, s[44:47], 0 offset:28 ; 4-byte Folded Spill
	s_waitcnt vmcnt(4)
	v_add_u32_e32 v1, s41, v1
	s_waitcnt vmcnt(3)
	v_add_u32_e32 v11, s41, v11
	v_lshlrev_b64 v[12:13], 3, v[54:55]
	s_waitcnt vmcnt(2)
	v_add_u32_e32 v0, s41, v0
	v_add_co_u32_e32 v40, vcc, s0, v12
	v_add_u32_e32 v12, s7, v46
	v_addc_co_u32_e32 v41, vcc, v14, v13, vcc
	v_ashrrev_i32_e32 v13, 31, v12
	v_lshlrev_b64 v[12:13], 3, v[12:13]
	v_mov_b32_e32 v14, s11
	v_add_co_u32_e32 v15, vcc, s10, v12
	v_addc_co_u32_e32 v16, vcc, v14, v13, vcc
	v_mov_b32_e32 v14, s13
	v_add_co_u32_e32 v12, vcc, s12, v12
	v_addc_co_u32_e32 v13, vcc, v14, v13, vcc
	buffer_store_dword v15, off, s[44:47], 0 offset:288 ; 4-byte Folded Spill
	s_nop 0
	buffer_store_dword v16, off, s[44:47], 0 offset:292 ; 4-byte Folded Spill
	buffer_store_dword v12, off, s[44:47], 0 offset:296 ; 4-byte Folded Spill
	s_nop 0
	buffer_store_dword v13, off, s[44:47], 0 offset:300 ; 4-byte Folded Spill
	buffer_load_dword v13, off, s[44:47], 0 ; 4-byte Folded Reload
	s_add_i32 s0, s33, s7
	v_mov_b32_e32 v15, s15
	s_waitcnt vmcnt(0)
	v_add_u32_e32 v12, s0, v13
	v_mov_b32_e32 v16, v13
	v_ashrrev_i32_e32 v13, 31, v12
	v_lshlrev_b64 v[13:14], 3, v[12:13]
	v_add_u32_e32 v12, s28, v12
	v_add_co_u32_e32 v13, vcc, s14, v13
	v_addc_co_u32_e32 v14, vcc, v15, v14, vcc
	buffer_store_dword v13, off, s[44:47], 0 offset:304 ; 4-byte Folded Spill
	s_nop 0
	buffer_store_dword v14, off, s[44:47], 0 offset:308 ; 4-byte Folded Spill
	v_ashrrev_i32_e32 v13, 31, v12
	v_lshlrev_b64 v[13:14], 3, v[12:13]
	v_add_u32_e32 v12, s28, v12
	v_add_co_u32_e32 v13, vcc, s14, v13
	v_addc_co_u32_e32 v14, vcc, v15, v14, vcc
	buffer_store_dword v13, off, s[44:47], 0 offset:320 ; 4-byte Folded Spill
	s_nop 0
	buffer_store_dword v14, off, s[44:47], 0 offset:324 ; 4-byte Folded Spill
	v_ashrrev_i32_e32 v13, 31, v12
	v_lshlrev_b64 v[12:13], 3, v[12:13]
	v_mov_b32_e32 v14, s15
	v_add_co_u32_e32 v12, vcc, s14, v12
	v_addc_co_u32_e32 v13, vcc, v14, v13, vcc
	buffer_store_dword v12, off, s[44:47], 0 offset:336 ; 4-byte Folded Spill
	s_nop 0
	buffer_store_dword v13, off, s[44:47], 0 offset:340 ; 4-byte Folded Spill
	v_add_u32_e32 v12, s28, v16
	v_ashrrev_i32_e32 v13, 31, v12
	v_lshlrev_b64 v[13:14], 3, v[12:13]
	v_mov_b32_e32 v15, s9
	v_add_co_u32_e32 v13, vcc, s8, v13
	v_addc_co_u32_e32 v14, vcc, v15, v14, vcc
	buffer_store_dword v13, off, s[44:47], 0 offset:344 ; 4-byte Folded Spill
	s_nop 0
	buffer_store_dword v14, off, s[44:47], 0 offset:348 ; 4-byte Folded Spill
	v_add_u32_e32 v12, s28, v12
	v_ashrrev_i32_e32 v13, 31, v12
	v_lshlrev_b64 v[13:14], 3, v[12:13]
	v_add_u32_e32 v12, s28, v12
	v_add_co_u32_e32 v13, vcc, s8, v13
	v_addc_co_u32_e32 v14, vcc, v15, v14, vcc
	buffer_store_dword v13, off, s[44:47], 0 offset:352 ; 4-byte Folded Spill
	s_nop 0
	buffer_store_dword v14, off, s[44:47], 0 offset:356 ; 4-byte Folded Spill
	v_ashrrev_i32_e32 v13, 31, v12
	v_lshlrev_b64 v[12:13], 3, v[12:13]
	v_mov_b32_e32 v14, s9
	v_add_co_u32_e32 v12, vcc, s8, v12
	v_addc_co_u32_e32 v13, vcc, v14, v13, vcc
	buffer_store_dword v12, off, s[44:47], 0 offset:360 ; 4-byte Folded Spill
	s_nop 0
	buffer_store_dword v13, off, s[44:47], 0 offset:364 ; 4-byte Folded Spill
	buffer_load_dword v18, off, s[44:47], 0 offset:328 ; 4-byte Folded Reload
	v_mov_b32_e32 v16, s9
	s_mov_b32 s0, -1
	s_waitcnt vmcnt(0)
	v_add_u32_e32 v12, v18, v11
	v_add_u32_e32 v13, s33, v12
	v_ashrrev_i32_e32 v14, 31, v13
	v_lshlrev_b64 v[13:14], 3, v[13:14]
	v_add_co_u32_e32 v13, vcc, s8, v13
	v_addc_co_u32_e32 v14, vcc, v15, v14, vcc
	buffer_store_dword v13, off, s[44:47], 0 offset:368 ; 4-byte Folded Spill
	s_nop 0
	buffer_store_dword v14, off, s[44:47], 0 offset:372 ; 4-byte Folded Spill
	v_add_u32_e32 v13, v18, v10
	v_add_u32_e32 v14, s33, v13
	v_ashrrev_i32_e32 v15, 31, v14
	v_lshlrev_b64 v[14:15], 3, v[14:15]
	v_add_co_u32_e32 v14, vcc, s8, v14
	v_addc_co_u32_e32 v15, vcc, v16, v15, vcc
	buffer_store_dword v14, off, s[44:47], 0 offset:376 ; 4-byte Folded Spill
	s_nop 0
	buffer_store_dword v15, off, s[44:47], 0 offset:380 ; 4-byte Folded Spill
	;; [unrolled: 9-line block ×3, first 2 shown]
	v_add_u32_e32 v15, v18, v0
	v_add_u32_e32 v16, s33, v15
	v_ashrrev_i32_e32 v17, 31, v16
	v_lshlrev_b64 v[16:17], 3, v[16:17]
	v_mov_b32_e32 v18, s9
	v_add_co_u32_e32 v16, vcc, s8, v16
	v_addc_co_u32_e32 v17, vcc, v18, v17, vcc
	buffer_store_dword v16, off, s[44:47], 0 offset:328 ; 4-byte Folded Spill
	s_nop 0
	buffer_store_dword v17, off, s[44:47], 0 offset:332 ; 4-byte Folded Spill
	buffer_load_dword v20, off, s[44:47], 0 offset:312 ; 4-byte Folded Reload
	s_waitcnt vmcnt(0)
	v_add_u32_e32 v16, v20, v11
	v_add_u32_e32 v17, s33, v16
	v_ashrrev_i32_e32 v18, 31, v17
	v_lshlrev_b64 v[17:18], 3, v[17:18]
	v_add_u32_e32 v63, v20, v10
	v_add_co_u32_e32 v17, vcc, s8, v17
	v_addc_co_u32_e32 v18, vcc, v19, v18, vcc
	buffer_store_dword v17, off, s[44:47], 0 offset:392 ; 4-byte Folded Spill
	s_nop 0
	buffer_store_dword v18, off, s[44:47], 0 offset:396 ; 4-byte Folded Spill
	v_add_u32_e32 v17, s33, v63
	v_ashrrev_i32_e32 v18, 31, v17
	v_lshlrev_b64 v[17:18], 3, v[17:18]
	v_add_u32_e32 v62, v20, v1
	v_add_co_u32_e32 v17, vcc, s8, v17
	v_addc_co_u32_e32 v18, vcc, v19, v18, vcc
	buffer_store_dword v17, off, s[44:47], 0 offset:400 ; 4-byte Folded Spill
	s_nop 0
	buffer_store_dword v18, off, s[44:47], 0 offset:404 ; 4-byte Folded Spill
	;; [unrolled: 9-line block ×3, first 2 shown]
	buffer_load_dword v20, off, s[44:47], 0 offset:280 ; 4-byte Folded Reload
	v_add_u32_e32 v17, s33, v50
	global_load_dwordx2 v[40:41], v[40:41], off offset:-8
	v_ashrrev_i32_e32 v18, 31, v17
	v_lshlrev_b64 v[17:18], 3, v[17:18]
	v_add_co_u32_e32 v42, vcc, s8, v17
	v_addc_co_u32_e32 v43, vcc, v19, v18, vcc
	s_waitcnt vmcnt(1)
	v_add_u32_e32 v30, v20, v11
	v_add_u32_e32 v17, s33, v30
	v_ashrrev_i32_e32 v18, 31, v17
	v_lshlrev_b64 v[17:18], 3, v[17:18]
	v_add_u32_e32 v29, v20, v10
	v_add_co_u32_e32 v44, vcc, s8, v17
	v_add_u32_e32 v17, s33, v29
	v_addc_co_u32_e32 v45, vcc, v19, v18, vcc
	v_ashrrev_i32_e32 v18, 31, v17
	v_lshlrev_b64 v[17:18], 3, v[17:18]
	v_add_u32_e32 v61, v20, v1
	v_add_co_u32_e32 v46, vcc, s8, v17
	v_add_u32_e32 v17, s33, v61
	v_addc_co_u32_e32 v47, vcc, v19, v18, vcc
	v_ashrrev_i32_e32 v18, 31, v17
	v_lshlrev_b64 v[17:18], 3, v[17:18]
	v_add_u32_e32 v27, v20, v0
	v_add_co_u32_e32 v48, vcc, s8, v17
	v_add_u32_e32 v17, s33, v27
	v_addc_co_u32_e32 v49, vcc, v19, v18, vcc
	v_ashrrev_i32_e32 v18, 31, v17
	v_lshlrev_b64 v[17:18], 3, v[17:18]
	v_add_u32_e32 v30, s28, v30
	v_add_co_u32_e32 v51, vcc, s8, v17
	v_addc_co_u32_e32 v52, vcc, v19, v18, vcc
	buffer_load_dword v19, off, s[44:47], 0 offset:272 ; 4-byte Folded Reload
	s_waitcnt vmcnt(1)
	buffer_store_dword v40, off, s[44:47], 0 offset:960 ; 4-byte Folded Spill
	s_nop 0
	buffer_store_dword v41, off, s[44:47], 0 offset:964 ; 4-byte Folded Spill
	buffer_load_dword v40, off, s[44:47], 0 offset:288 ; 4-byte Folded Reload
	s_nop 0
	buffer_load_dword v41, off, s[44:47], 0 offset:292 ; 4-byte Folded Reload
	v_add_u32_e32 v34, s28, v27
	v_ashrrev_i32_e32 v35, 31, v34
	v_lshlrev_b64 v[34:35], 3, v[34:35]
	v_mov_b32_e32 v27, s9
	s_waitcnt vmcnt(4)
	v_add_u32_e32 v28, v19, v11
	v_add_u32_e32 v17, s33, v28
	s_waitcnt vmcnt(0)
	global_load_dwordx2 v[40:41], v[40:41], off
	v_ashrrev_i32_e32 v18, 31, v17
	v_lshlrev_b64 v[17:18], 3, v[17:18]
	v_mov_b32_e32 v11, s9
	v_add_co_u32_e32 v53, vcc, s8, v17
	v_addc_co_u32_e32 v54, vcc, v11, v18, vcc
	v_add_u32_e32 v26, v19, v10
	v_add_u32_e32 v10, s33, v26
	v_ashrrev_i32_e32 v11, 31, v10
	v_lshlrev_b64 v[10:11], 3, v[10:11]
	v_mov_b32_e32 v17, s9
	v_add_co_u32_e32 v55, vcc, s8, v10
	v_addc_co_u32_e32 v56, vcc, v17, v11, vcc
	v_add_u32_e32 v1, v19, v1
	v_add_u32_e32 v10, s33, v1
	v_ashrrev_i32_e32 v11, 31, v10
	v_lshlrev_b64 v[10:11], 3, v[10:11]
	v_add_u32_e32 v0, v19, v0
	v_add_co_u32_e32 v57, vcc, s8, v10
	s_waitcnt vmcnt(0)
	buffer_store_dword v40, off, s[44:47], 0 offset:1016 ; 4-byte Folded Spill
	s_nop 0
	buffer_store_dword v41, off, s[44:47], 0 offset:1020 ; 4-byte Folded Spill
	buffer_load_dword v40, off, s[44:47], 0 offset:296 ; 4-byte Folded Reload
	s_nop 0
	buffer_load_dword v41, off, s[44:47], 0 offset:300 ; 4-byte Folded Reload
	v_addc_co_u32_e32 v58, vcc, v17, v11, vcc
	v_add_u32_e32 v10, s33, v0
	v_ashrrev_i32_e32 v11, 31, v10
	v_lshlrev_b64 v[10:11], 3, v[10:11]
	v_add_u32_e32 v36, s28, v26
	v_add_co_u32_e32 v59, vcc, s8, v10
	v_addc_co_u32_e32 v60, vcc, v17, v11, vcc
	v_add_u32_e32 v10, s28, v12
	v_ashrrev_i32_e32 v11, 31, v10
	v_lshlrev_b64 v[10:11], 3, v[10:11]
	v_mov_b32_e32 v12, s9
	v_add_co_u32_e32 v24, vcc, s8, v10
	v_addc_co_u32_e32 v25, vcc, v12, v11, vcc
	v_add_u32_e32 v10, s28, v13
	v_ashrrev_i32_e32 v11, 31, v10
	v_lshlrev_b64 v[10:11], 3, v[10:11]
	v_mov_b32_e32 v13, s9
	v_add_co_u32_e32 v22, vcc, s8, v10
	v_addc_co_u32_e32 v23, vcc, v12, v11, vcc
	v_add_u32_e32 v10, s28, v14
	v_ashrrev_i32_e32 v11, 31, v10
	v_lshlrev_b64 v[10:11], 3, v[10:11]
	v_ashrrev_i32_e32 v37, 31, v36
	v_add_co_u32_e32 v20, vcc, s8, v10
	v_addc_co_u32_e32 v21, vcc, v12, v11, vcc
	v_add_u32_e32 v10, s28, v15
	v_ashrrev_i32_e32 v11, 31, v10
	v_lshlrev_b64 v[10:11], 3, v[10:11]
	v_lshlrev_b64 v[36:37], 3, v[36:37]
	v_add_co_u32_e32 v18, vcc, s8, v10
	v_addc_co_u32_e32 v19, vcc, v12, v11, vcc
	v_add_u32_e32 v10, s28, v16
	v_ashrrev_i32_e32 v11, 31, v10
	v_lshlrev_b64 v[10:11], 3, v[10:11]
	v_mov_b32_e32 v26, s9
	v_add_co_u32_e32 v16, vcc, s8, v10
	v_addc_co_u32_e32 v17, vcc, v12, v11, vcc
	v_add_u32_e32 v10, s28, v63
	v_ashrrev_i32_e32 v11, 31, v10
	v_lshlrev_b64 v[10:11], 3, v[10:11]
	v_add_u32_e32 v38, s28, v1
	v_add_co_u32_e32 v14, vcc, s8, v10
	v_addc_co_u32_e32 v15, vcc, v12, v11, vcc
	v_add_u32_e32 v10, s28, v62
	v_ashrrev_i32_e32 v11, 31, v10
	v_lshlrev_b64 v[10:11], 3, v[10:11]
	v_add_u32_e32 v62, s28, v29
	v_add_co_u32_e32 v12, vcc, s8, v10
	v_addc_co_u32_e32 v13, vcc, v13, v11, vcc
	v_add_u32_e32 v10, s28, v50
	v_ashrrev_i32_e32 v11, 31, v10
	v_lshlrev_b64 v[10:11], 3, v[10:11]
	v_ashrrev_i32_e32 v63, 31, v62
	v_add_co_u32_e32 v10, vcc, s8, v10
	v_addc_co_u32_e32 v11, vcc, v31, v11, vcc
	v_ashrrev_i32_e32 v31, 31, v30
	v_lshlrev_b64 v[30:31], 3, v[30:31]
	v_lshlrev_b64 v[62:63], 3, v[62:63]
	v_add_co_u32_e32 v30, vcc, s8, v30
	s_waitcnt vmcnt(0)
	global_load_dwordx2 v[40:41], v[40:41], off
	v_addc_co_u32_e32 v31, vcc, v32, v31, vcc
	v_mov_b32_e32 v29, s9
	v_add_co_u32_e32 v62, vcc, s8, v62
	v_addc_co_u32_e32 v63, vcc, v29, v63, vcc
	v_add_u32_e32 v32, s28, v61
	v_ashrrev_i32_e32 v33, 31, v32
	v_lshlrev_b64 v[32:33], 3, v[32:33]
	v_ashrrev_i32_e32 v39, 31, v38
	v_add_co_u32_e32 v32, vcc, s8, v32
	v_addc_co_u32_e32 v33, vcc, v29, v33, vcc
	v_add_co_u32_e32 v34, vcc, s8, v34
	v_addc_co_u32_e32 v35, vcc, v27, v35, vcc
	v_add_u32_e32 v27, s28, v28
	v_ashrrev_i32_e32 v28, 31, v27
	v_lshlrev_b64 v[27:28], 3, v[27:28]
	v_lshlrev_b64 v[38:39], 3, v[38:39]
	s_waitcnt vmcnt(0)
	buffer_store_dword v40, off, s[44:47], 0 offset:1024 ; 4-byte Folded Spill
	s_nop 0
	buffer_store_dword v41, off, s[44:47], 0 offset:1028 ; 4-byte Folded Spill
	buffer_load_dword v40, off, s[44:47], 0 offset:304 ; 4-byte Folded Reload
	s_nop 0
	buffer_load_dword v41, off, s[44:47], 0 offset:308 ; 4-byte Folded Reload
	v_add_co_u32_e32 v27, vcc, s8, v27
	v_addc_co_u32_e32 v28, vcc, v29, v28, vcc
	v_add_co_u32_e32 v36, vcc, s8, v36
	v_addc_co_u32_e32 v37, vcc, v26, v37, vcc
	v_mov_b32_e32 v1, s9
	v_add_co_u32_e32 v38, vcc, s8, v38
	v_addc_co_u32_e32 v39, vcc, v1, v39, vcc
	v_add_u32_e32 v0, s28, v0
	v_ashrrev_i32_e32 v1, 31, v0
	v_lshlrev_b64 v[0:1], 3, v[0:1]
	v_add_co_u32_e32 v0, vcc, s8, v0
	v_addc_co_u32_e32 v1, vcc, v26, v1, vcc
	s_waitcnt vmcnt(0)
	global_load_dwordx2 v[40:41], v[40:41], off
	s_waitcnt vmcnt(0)
	buffer_store_dword v40, off, s[44:47], 0 offset:1008 ; 4-byte Folded Spill
	s_nop 0
	buffer_store_dword v41, off, s[44:47], 0 offset:1012 ; 4-byte Folded Spill
	buffer_load_dword v40, off, s[44:47], 0 offset:320 ; 4-byte Folded Reload
	s_nop 0
	buffer_load_dword v41, off, s[44:47], 0 offset:324 ; 4-byte Folded Reload
	s_waitcnt vmcnt(0)
	global_load_dwordx2 v[40:41], v[40:41], off
	s_waitcnt vmcnt(0)
	buffer_store_dword v40, off, s[44:47], 0 offset:1000 ; 4-byte Folded Spill
	s_nop 0
	buffer_store_dword v41, off, s[44:47], 0 offset:1004 ; 4-byte Folded Spill
	buffer_load_dword v40, off, s[44:47], 0 offset:336 ; 4-byte Folded Reload
	s_nop 0
	buffer_load_dword v41, off, s[44:47], 0 offset:340 ; 4-byte Folded Reload
	;; [unrolled: 9-line block ×12, first 2 shown]
	s_waitcnt vmcnt(0)
	global_load_dwordx2 v[40:41], v[40:41], off
	s_waitcnt vmcnt(0)
	buffer_store_dword v40, off, s[44:47], 0 offset:376 ; 4-byte Folded Spill
	s_nop 0
	buffer_store_dword v41, off, s[44:47], 0 offset:380 ; 4-byte Folded Spill
	global_load_dwordx2 v[40:41], v[42:43], off
	v_mov_b32_e32 v42, 0
	v_mov_b32_e32 v43, 0
	s_waitcnt vmcnt(0)
	buffer_store_dword v40, off, s[44:47], 0 offset:408 ; 4-byte Folded Spill
	s_nop 0
	buffer_store_dword v41, off, s[44:47], 0 offset:412 ; 4-byte Folded Spill
	global_load_dwordx2 v[40:41], v[44:45], off
	v_mov_b32_e32 v44, 0
	v_mov_b32_e32 v45, 0
	;; [unrolled: 7-line block ×4, first 2 shown]
	s_waitcnt vmcnt(0)
	buffer_store_dword v40, off, s[44:47], 0 offset:424 ; 4-byte Folded Spill
	s_nop 0
	buffer_store_dword v41, off, s[44:47], 0 offset:428 ; 4-byte Folded Spill
	global_load_dwordx2 v[40:41], v[51:52], off
	s_waitcnt vmcnt(0)
	buffer_store_dword v40, off, s[44:47], 0 offset:416 ; 4-byte Folded Spill
	s_nop 0
	buffer_store_dword v41, off, s[44:47], 0 offset:420 ; 4-byte Folded Spill
	global_load_dwordx2 v[40:41], v[53:54], off
	v_mov_b32_e32 v53, 0
	v_mov_b32_e32 v54, 0
	s_waitcnt vmcnt(0)
	buffer_store_dword v40, off, s[44:47], 0 offset:520 ; 4-byte Folded Spill
	s_nop 0
	buffer_store_dword v41, off, s[44:47], 0 offset:524 ; 4-byte Folded Spill
	global_load_dwordx2 v[40:41], v[55:56], off
	v_mov_b32_e32 v55, 0
	v_mov_b32_e32 v56, 0
	s_waitcnt vmcnt(0)
	buffer_store_dword v40, off, s[44:47], 0 offset:496 ; 4-byte Folded Spill
	s_nop 0
	buffer_store_dword v41, off, s[44:47], 0 offset:500 ; 4-byte Folded Spill
	buffer_load_dword v51, off, s[44:47], 0 offset:24 ; 4-byte Folded Reload
	buffer_load_dword v52, off, s[44:47], 0 offset:28 ; 4-byte Folded Reload
	s_nop 0
	global_load_dwordx2 v[40:41], v[57:58], off
	v_mov_b32_e32 v57, 0
	v_mov_b32_e32 v58, 0
	s_waitcnt vmcnt(0)
	buffer_store_dword v40, off, s[44:47], 0 offset:456 ; 4-byte Folded Spill
	s_nop 0
	buffer_store_dword v41, off, s[44:47], 0 offset:460 ; 4-byte Folded Spill
	global_load_dwordx2 v[40:41], v[59:60], off
	v_mov_b32_e32 v59, 0
	v_mov_b32_e32 v60, 0
	s_waitcnt vmcnt(0)
	buffer_store_dword v40, off, s[44:47], 0 offset:448 ; 4-byte Folded Spill
	s_nop 0
	buffer_store_dword v41, off, s[44:47], 0 offset:452 ; 4-byte Folded Spill
	;; [unrolled: 7-line block ×3, first 2 shown]
	global_load_dwordx2 v[22:23], v[22:23], off
	s_nop 0
	buffer_load_dword v24, off, s[44:47], 0 ; 4-byte Folded Reload
	s_waitcnt vmcnt(1)
	buffer_store_dword v22, off, s[44:47], 0 offset:352 ; 4-byte Folded Spill
	s_nop 0
	buffer_store_dword v23, off, s[44:47], 0 offset:356 ; 4-byte Folded Spill
	global_load_dwordx2 v[20:21], v[20:21], off
	s_waitcnt vmcnt(0)
	buffer_store_dword v20, off, s[44:47], 0 offset:272 ; 4-byte Folded Spill
	s_nop 0
	buffer_store_dword v21, off, s[44:47], 0 offset:276 ; 4-byte Folded Spill
	global_load_dwordx2 v[18:19], v[18:19], off
	;; [unrolled: 5-line block ×10, first 2 shown]
	v_mov_b32_e32 v34, 0
	v_mov_b32_e32 v35, 0
	s_waitcnt vmcnt(0)
	buffer_store_dword v10, off, s[44:47], 0 offset:304 ; 4-byte Folded Spill
	s_nop 0
	buffer_store_dword v11, off, s[44:47], 0 offset:308 ; 4-byte Folded Spill
	global_load_dwordx2 v[10:11], v[27:28], off
	s_waitcnt vmcnt(0)
	buffer_store_dword v10, off, s[44:47], 0 offset:440 ; 4-byte Folded Spill
	s_nop 0
	buffer_store_dword v11, off, s[44:47], 0 offset:444 ; 4-byte Folded Spill
	global_load_dwordx2 v[10:11], v[36:37], off
	v_mov_b32_e32 v36, 0
	v_mov_b32_e32 v37, 0
	s_waitcnt vmcnt(0)
	buffer_store_dword v10, off, s[44:47], 0 offset:432 ; 4-byte Folded Spill
	s_nop 0
	buffer_store_dword v11, off, s[44:47], 0 offset:436 ; 4-byte Folded Spill
	global_load_dwordx2 v[10:11], v[38:39], off
	v_mov_b32_e32 v38, 0
	v_mov_b32_e32 v39, 0
	s_waitcnt vmcnt(0)
	buffer_store_dword v10, off, s[44:47], 0 offset:320 ; 4-byte Folded Spill
	s_nop 0
	buffer_store_dword v11, off, s[44:47], 0 offset:324 ; 4-byte Folded Spill
	global_load_dwordx2 v[0:1], v[0:1], off
	s_waitcnt vmcnt(0)
	buffer_store_dword v0, off, s[44:47], 0 offset:328 ; 4-byte Folded Spill
	s_nop 0
	buffer_store_dword v1, off, s[44:47], 0 offset:332 ; 4-byte Folded Spill
.LBB0_6:                                ; =>This Inner Loop Header: Depth=1
	v_add_u32_e32 v0, s0, v51
	v_ashrrev_i32_e32 v1, 31, v0
	v_lshlrev_b64 v[0:1], 3, v[0:1]
	v_mov_b32_e32 v10, s23
	v_add_co_u32_e32 v0, vcc, s22, v0
	v_addc_co_u32_e32 v1, vcc, v10, v1, vcc
	s_ashr_i32 s3, s1, 31
	global_load_dwordx2 v[12:13], v[0:1], off
	v_add_co_u32_e32 v18, vcc, s1, v24
	v_mov_b32_e32 v0, s3
	v_ashrrev_i32_e32 v1, 31, v24
	v_addc_co_u32_e32 v1, vcc, v0, v1, vcc
	v_add_co_u32_e32 v10, vcc, s28, v18
	v_mov_b32_e32 v0, s29
	v_addc_co_u32_e32 v11, vcc, v1, v0, vcc
	v_lshlrev_b64 v[10:11], 3, v[10:11]
	v_mov_b32_e32 v0, s9
	v_add_co_u32_e32 v14, vcc, s8, v10
	v_addc_co_u32_e32 v15, vcc, v0, v11, vcc
	v_add_co_u32_e32 v10, vcc, s33, v18
	v_mov_b32_e32 v11, s34
	v_addc_co_u32_e32 v11, vcc, v1, v11, vcc
	v_lshlrev_b64 v[10:11], 3, v[10:11]
	global_load_dwordx4 v[26:29], v[14:15], off offset:-16
	v_add_co_u32_e32 v16, vcc, s8, v10
	v_addc_co_u32_e32 v17, vcc, v0, v11, vcc
	v_add_co_u32_e32 v10, vcc, s35, v18
	v_mov_b32_e32 v11, s40
	v_addc_co_u32_e32 v11, vcc, v1, v11, vcc
	v_lshlrev_b64 v[10:11], 3, v[10:11]
	global_load_dwordx4 v[30:33], v[16:17], off offset:-16
	v_add_co_u32_e32 v10, vcc, s8, v10
	v_addc_co_u32_e32 v11, vcc, v0, v11, vcc
	global_load_dwordx4 v[18:21], v[10:11], off offset:-16
	s_add_i32 s0, s0, 6
	s_add_i32 s1, s1, s7
	s_cmp_eq_u32 s0, 47
	s_waitcnt vmcnt(2)
	v_fma_f64 v[44:45], v[12:13], v[26:27], v[44:45]
	v_fma_f64 v[40:41], v[12:13], v[28:29], v[40:41]
	s_waitcnt vmcnt(0)
	v_fma_f64 v[48:49], v[12:13], v[18:19], v[48:49]
	v_fma_f64 v[42:43], v[12:13], v[20:21], v[42:43]
	global_load_dwordx4 v[18:21], v[14:15], off offset:8
	s_waitcnt vmcnt(0)
	v_fma_f64 v[36:37], v[12:13], v[20:21], v[36:37]
	global_load_dwordx4 v[20:23], v[10:11], off offset:8
	v_fma_f64 v[53:54], v[12:13], v[30:31], v[53:54]
	global_load_dwordx4 v[14:17], v[16:17], off offset:8
	v_fma_f64 v[46:47], v[12:13], v[32:33], v[46:47]
	v_fma_f64 v[59:60], v[12:13], v[18:19], v[59:60]
	s_waitcnt vmcnt(1)
	v_fma_f64 v[34:35], v[12:13], v[22:23], v[34:35]
	v_fma_f64 v[55:56], v[12:13], v[20:21], v[55:56]
	s_waitcnt vmcnt(0)
	v_fma_f64 v[38:39], v[12:13], v[16:17], v[38:39]
	v_fma_f64 v[57:58], v[12:13], v[14:15], v[57:58]
	s_cbranch_scc0 .LBB0_6
; %bb.7:
	buffer_store_dword v59, off, s[44:47], 0 offset:952 ; 4-byte Folded Spill
	s_nop 0
	buffer_store_dword v60, off, s[44:47], 0 offset:956 ; 4-byte Folded Spill
	buffer_store_dword v57, off, s[44:47], 0 offset:944 ; 4-byte Folded Spill
	s_nop 0
	buffer_store_dword v58, off, s[44:47], 0 offset:948 ; 4-byte Folded Spill
	;; [unrolled: 3-line block ×3, first 2 shown]
	buffer_load_dword v10, off, s[44:47], 0 offset:80 ; 4-byte Folded Reload
	buffer_load_dword v11, off, s[44:47], 0 offset:84 ; 4-byte Folded Reload
	;; [unrolled: 1-line block ×4, first 2 shown]
	v_mov_b32_e32 v1, s15
	s_lshl_b32 s16, s28, 2
	s_ashr_i32 s0, s16, 31
	s_mul_i32 s1, s31, 3
	s_lshl_b32 s3, s30, 2
	v_mov_b32_e32 v28, 0
	v_mov_b32_e32 v58, 0
	;; [unrolled: 1-line block ×14, first 2 shown]
	buffer_load_dword v14, off, s[44:47], 0 offset:528 ; 4-byte Folded Reload
	s_waitcnt vmcnt(4)
	v_add_co_u32_e32 v0, vcc, s14, v10
	s_waitcnt vmcnt(3)
	v_addc_co_u32_e32 v1, vcc, v1, v11, vcc
	s_waitcnt vmcnt(2)
	v_add_co_u32_e32 v10, vcc, s14, v12
	buffer_load_dword v12, off, s[44:47], 0 offset:16 ; 4-byte Folded Reload
	v_mov_b32_e32 v11, s15
	s_waitcnt vmcnt(2)
	v_addc_co_u32_e32 v11, vcc, v11, v13, vcc
	v_mov_b32_e32 v13, s0
	s_mov_b32 s0, -1
	s_waitcnt vmcnt(0)
	v_add_co_u32_e32 v12, vcc, s16, v12
	v_addc_co_u32_e32 v13, vcc, v14, v13, vcc
	v_lshlrev_b64 v[12:13], 3, v[12:13]
	v_mov_b32_e32 v14, s15
	v_add_co_u32_e32 v12, vcc, s14, v12
	v_addc_co_u32_e32 v13, vcc, v14, v13, vcc
	global_load_dwordx4 v[14:17], v[0:1], off offset:8
	s_waitcnt vmcnt(0)
	buffer_store_dword v14, off, s[44:47], 0 offset:1032 ; 4-byte Folded Spill
	s_nop 0
	buffer_store_dword v15, off, s[44:47], 0 offset:1036 ; 4-byte Folded Spill
	buffer_store_dword v16, off, s[44:47], 0 offset:1040 ; 4-byte Folded Spill
	buffer_store_dword v17, off, s[44:47], 0 offset:1044 ; 4-byte Folded Spill
	global_load_dwordx4 v[14:17], v[0:1], off offset:-16
	s_waitcnt vmcnt(0)
	buffer_store_dword v14, off, s[44:47], 0 offset:544 ; 4-byte Folded Spill
	s_nop 0
	buffer_store_dword v15, off, s[44:47], 0 offset:548 ; 4-byte Folded Spill
	buffer_store_dword v16, off, s[44:47], 0 offset:552 ; 4-byte Folded Spill
	buffer_store_dword v17, off, s[44:47], 0 offset:556 ; 4-byte Folded Spill
	global_load_dwordx4 v[14:17], v[10:11], off offset:8
	s_waitcnt vmcnt(0)
	buffer_store_dword v14, off, s[44:47], 0 offset:1064 ; 4-byte Folded Spill
	s_nop 0
	buffer_store_dword v15, off, s[44:47], 0 offset:1068 ; 4-byte Folded Spill
	buffer_store_dword v16, off, s[44:47], 0 offset:1072 ; 4-byte Folded Spill
	buffer_store_dword v17, off, s[44:47], 0 offset:1076 ; 4-byte Folded Spill
	global_load_dwordx4 v[14:17], v[10:11], off offset:-16
	s_waitcnt vmcnt(0)
	buffer_store_dword v14, off, s[44:47], 0 offset:560 ; 4-byte Folded Spill
	s_nop 0
	buffer_store_dword v15, off, s[44:47], 0 offset:564 ; 4-byte Folded Spill
	buffer_store_dword v16, off, s[44:47], 0 offset:568 ; 4-byte Folded Spill
	buffer_store_dword v17, off, s[44:47], 0 offset:572 ; 4-byte Folded Spill
	;; [unrolled: 14-line block ×3, first 2 shown]
	buffer_load_dword v0, off, s[44:47], 0 offset:892 ; 4-byte Folded Reload
	buffer_load_dword v14, off, s[44:47], 0 offset:880 ; 4-byte Folded Reload
	s_nop 0
	buffer_load_dword v11, off, s[44:47], 0 offset:884 ; 4-byte Folded Reload
	buffer_load_dword v12, off, s[44:47], 0 offset:888 ; 4-byte Folded Reload
	s_waitcnt vmcnt(3)
	v_xad_u32 v0, s2, -1, v0
	v_subrev_u32_e32 v0, s36, v0
	v_mul_lo_u32 v0, v0, s27
	s_not_b32 s2, s36
	s_waitcnt vmcnt(1)
	v_add_u32_e32 v11, s2, v11
	v_mul_lo_u32 v11, v11, s27
	v_add_u32_e32 v1, v14, v0
	v_add_u32_e32 v10, s1, v1
	s_waitcnt vmcnt(0)
	v_add_u32_e32 v12, s2, v12
	v_subrev_u32_e32 v10, s3, v10
	v_mul_lo_u32 v12, v12, s27
	v_add_u32_e32 v15, 3, v10
	v_add_u32_e32 v10, v14, v11
	;; [unrolled: 1-line block ×3, first 2 shown]
	v_subrev_u32_e32 v13, s3, v13
	v_add_u32_e32 v16, 3, v13
	v_add_u32_e32 v13, v14, v12
	;; [unrolled: 1-line block ×3, first 2 shown]
	v_subrev_u32_e32 v14, s3, v14
	s_lshl_b32 s1, s31, 2
	v_add_u32_e32 v57, 3, v14
	v_add_u32_e32 v14, s1, v1
	s_mul_i32 s2, s30, 5
	v_subrev_u32_e32 v14, s2, v14
	v_add_u32_e32 v56, 4, v14
	v_add_u32_e32 v14, s1, v10
	v_subrev_u32_e32 v14, s2, v14
	v_add_u32_e32 v52, 4, v14
	v_add_u32_e32 v14, s1, v13
	v_subrev_u32_e32 v14, s2, v14
	v_add_u32_e32 v17, 4, v14
	buffer_load_dword v14, off, s[44:47], 0 offset:8 ; 4-byte Folded Reload
	s_add_i32 s1, s25, s24
	s_add_i32 s1, s1, s31
	v_subrev_u32_e32 v63, s30, v13
	v_subrev_u32_e32 v62, s30, v10
	v_mov_b32_e32 v51, v17
	v_mov_b32_e32 v10, v16
	s_waitcnt vmcnt(0)
	v_add_u32_e32 v14, s1, v14
	v_add_u32_e32 v0, v14, v0
	s_lshl_b32 s1, s30, 1
	v_subrev_u32_e32 v0, s1, v0
	v_add_u32_e32 v55, 1, v0
	v_add_u32_e32 v0, v14, v11
	v_subrev_u32_e32 v0, s1, v0
	v_add_u32_e32 v50, 1, v0
	v_add_u32_e32 v0, v14, v12
	v_mov_b32_e32 v12, 0
	v_subrev_u32_e32 v0, s1, v0
	v_mov_b32_e32 v13, 0
	v_add_u32_e32 v11, 1, v0
	v_subrev_u32_e32 v0, s30, v1
	buffer_store_dword v63, off, s[44:47], 0 offset:924 ; 4-byte Folded Spill
	buffer_store_dword v62, off, s[44:47], 0 offset:920 ; 4-byte Folded Spill
	buffer_store_dword v0, off, s[44:47], 0 offset:916 ; 4-byte Folded Spill
	buffer_store_dword v11, off, s[44:47], 0 offset:912 ; 4-byte Folded Spill
	buffer_store_dword v50, off, s[44:47], 0 offset:908 ; 4-byte Folded Spill
	buffer_store_dword v55, off, s[44:47], 0 offset:904 ; 4-byte Folded Spill
	buffer_store_dword v17, off, s[44:47], 0 offset:900 ; 4-byte Folded Spill
	buffer_store_dword v52, off, s[44:47], 0 offset:896 ; 4-byte Folded Spill
	buffer_store_dword v56, off, s[44:47], 0 offset:892 ; 4-byte Folded Spill
	buffer_store_dword v57, off, s[44:47], 0 offset:888 ; 4-byte Folded Spill
	buffer_store_dword v16, off, s[44:47], 0 offset:884 ; 4-byte Folded Spill
	buffer_store_dword v15, off, s[44:47], 0 offset:880 ; 4-byte Folded Spill
	buffer_store_dword v12, off, s[44:47], 0 offset:8 ; 4-byte Folded Spill
	s_nop 0
	buffer_store_dword v13, off, s[44:47], 0 offset:12 ; 4-byte Folded Spill
	v_mov_b32_e32 v12, 0
	v_mov_b32_e32 v13, 0
	buffer_store_dword v12, off, s[44:47], 0 ; 4-byte Folded Spill
	s_nop 0
	buffer_store_dword v13, off, s[44:47], 0 offset:4 ; 4-byte Folded Spill
	v_mov_b32_e32 v1, v11
	v_mov_b32_e32 v11, v15
	;; [unrolled: 1-line block ×8, first 2 shown]
	buffer_store_dword v12, off, s[44:47], 0 offset:16 ; 4-byte Folded Spill
	s_nop 0
	buffer_store_dword v13, off, s[44:47], 0 offset:20 ; 4-byte Folded Spill
.LBB0_8:                                ; =>This Inner Loop Header: Depth=1
	buffer_load_dword v12, off, s[44:47], 0 offset:24 ; 4-byte Folded Reload
	s_nop 0
	buffer_load_dword v13, off, s[44:47], 0 offset:28 ; 4-byte Folded Reload
	v_mov_b32_e32 v18, s23
	s_waitcnt vmcnt(1)
	v_add_u32_e32 v12, s0, v12
	s_waitcnt vmcnt(0)
	v_ashrrev_i32_e32 v13, 31, v12
	v_lshlrev_b64 v[12:13], 3, v[12:13]
	s_add_i32 s0, s0, 6
	v_add_co_u32_e32 v12, vcc, s22, v12
	v_addc_co_u32_e32 v13, vcc, v18, v13, vcc
	global_load_dwordx2 v[18:19], v[12:13], off
	v_add_u32_e32 v12, s6, v0
	v_ashrrev_i32_e32 v13, 31, v12
	v_lshlrev_b64 v[12:13], 3, v[12:13]
	v_add_u32_e32 v0, s7, v0
	v_add_co_u32_e32 v22, vcc, s8, v12
	v_mov_b32_e32 v12, s9
	v_addc_co_u32_e32 v23, vcc, v12, v13, vcc
	global_load_dwordx2 v[22:23], v[22:23], off
	s_cmp_eq_u32 s0, 47
	s_waitcnt vmcnt(0)
	v_fma_f64 v[32:33], v[18:19], v[22:23], v[32:33]
	v_add_u32_e32 v22, s6, v62
	v_ashrrev_i32_e32 v23, 31, v22
	v_lshlrev_b64 v[22:23], 3, v[22:23]
	v_add_u32_e32 v62, s7, v62
	v_add_co_u32_e32 v22, vcc, s8, v22
	v_addc_co_u32_e32 v23, vcc, v12, v23, vcc
	global_load_dwordx2 v[22:23], v[22:23], off
	s_waitcnt vmcnt(0)
	v_fma_f64 v[16:17], v[18:19], v[22:23], v[16:17]
	v_add_u32_e32 v22, s6, v63
	v_ashrrev_i32_e32 v23, 31, v22
	v_lshlrev_b64 v[22:23], 3, v[22:23]
	v_add_u32_e32 v63, s7, v63
	v_add_co_u32_e32 v22, vcc, s8, v22
	v_addc_co_u32_e32 v23, vcc, v12, v23, vcc
	global_load_dwordx2 v[22:23], v[22:23], off
	s_nop 0
	buffer_load_dword v24, off, s[44:47], 0 offset:16 ; 4-byte Folded Reload
	buffer_load_dword v25, off, s[44:47], 0 offset:20 ; 4-byte Folded Reload
	s_waitcnt vmcnt(0)
	v_fma_f64 v[24:25], v[18:19], v[22:23], v[24:25]
	v_add_u32_e32 v22, s6, v55
	v_ashrrev_i32_e32 v23, 31, v22
	v_lshlrev_b64 v[22:23], 3, v[22:23]
	buffer_store_dword v24, off, s[44:47], 0 offset:16 ; 4-byte Folded Spill
	s_nop 0
	buffer_store_dword v25, off, s[44:47], 0 offset:20 ; 4-byte Folded Spill
	v_add_co_u32_e32 v22, vcc, s8, v22
	v_addc_co_u32_e32 v23, vcc, v12, v23, vcc
	global_load_dwordx2 v[22:23], v[22:23], off
	v_add_u32_e32 v55, s7, v55
	s_waitcnt vmcnt(0)
	v_fma_f64 v[26:27], v[18:19], v[22:23], v[26:27]
	v_add_u32_e32 v22, s6, v50
	v_ashrrev_i32_e32 v23, 31, v22
	v_lshlrev_b64 v[22:23], 3, v[22:23]
	v_add_u32_e32 v50, s7, v50
	v_add_co_u32_e32 v22, vcc, s8, v22
	v_addc_co_u32_e32 v23, vcc, v12, v23, vcc
	global_load_dwordx2 v[22:23], v[22:23], off
	s_waitcnt vmcnt(0)
	v_fma_f64 v[20:21], v[18:19], v[22:23], v[20:21]
	v_add_u32_e32 v22, s6, v1
	v_ashrrev_i32_e32 v23, 31, v22
	v_lshlrev_b64 v[22:23], 3, v[22:23]
	v_add_u32_e32 v1, s7, v1
	v_add_co_u32_e32 v22, vcc, s8, v22
	v_addc_co_u32_e32 v23, vcc, v12, v23, vcc
	global_load_dwordx2 v[22:23], v[22:23], off
	s_nop 0
	buffer_load_dword v24, off, s[44:47], 0 ; 4-byte Folded Reload
	buffer_load_dword v25, off, s[44:47], 0 offset:4 ; 4-byte Folded Reload
	s_waitcnt vmcnt(0)
	v_fma_f64 v[24:25], v[18:19], v[22:23], v[24:25]
	v_add_u32_e32 v22, s6, v56
	v_ashrrev_i32_e32 v23, 31, v22
	v_lshlrev_b64 v[22:23], 3, v[22:23]
	buffer_store_dword v24, off, s[44:47], 0 ; 4-byte Folded Spill
	s_nop 0
	buffer_store_dword v25, off, s[44:47], 0 offset:4 ; 4-byte Folded Spill
	v_add_co_u32_e32 v22, vcc, s8, v22
	v_addc_co_u32_e32 v23, vcc, v12, v23, vcc
	global_load_dwordx2 v[22:23], v[22:23], off
	v_add_u32_e32 v56, s7, v56
	s_waitcnt vmcnt(0)
	v_fma_f64 v[60:61], v[18:19], v[22:23], v[60:61]
	v_add_u32_e32 v22, s6, v52
	v_ashrrev_i32_e32 v23, 31, v22
	v_lshlrev_b64 v[22:23], 3, v[22:23]
	v_add_u32_e32 v52, s7, v52
	v_add_co_u32_e32 v22, vcc, s8, v22
	v_addc_co_u32_e32 v23, vcc, v12, v23, vcc
	global_load_dwordx2 v[22:23], v[22:23], off
	s_waitcnt vmcnt(0)
	v_fma_f64 v[58:59], v[18:19], v[22:23], v[58:59]
	v_add_u32_e32 v22, s6, v51
	v_ashrrev_i32_e32 v23, 31, v22
	v_lshlrev_b64 v[22:23], 3, v[22:23]
	v_add_u32_e32 v51, s7, v51
	v_add_co_u32_e32 v22, vcc, s8, v22
	v_addc_co_u32_e32 v23, vcc, v12, v23, vcc
	global_load_dwordx2 v[22:23], v[22:23], off
	;; [unrolled: 9-line block ×5, first 2 shown]
	s_nop 0
	buffer_load_dword v22, off, s[44:47], 0 offset:8 ; 4-byte Folded Reload
	buffer_load_dword v23, off, s[44:47], 0 offset:12 ; 4-byte Folded Reload
	s_waitcnt vmcnt(0)
	v_fma_f64 v[22:23], v[18:19], v[12:13], v[22:23]
	buffer_store_dword v22, off, s[44:47], 0 offset:8 ; 4-byte Folded Spill
	s_nop 0
	buffer_store_dword v23, off, s[44:47], 0 offset:12 ; 4-byte Folded Spill
	s_cbranch_scc0 .LBB0_8
; %bb.9:
	buffer_load_dword v0, off, s[44:47], 0 offset:472 ; 4-byte Folded Reload
	buffer_load_dword v1, off, s[44:47], 0 offset:476 ; 4-byte Folded Reload
	;; [unrolled: 1-line block ×4, first 2 shown]
	s_mov_b32 s0, 0x55555555
	s_mov_b32 s1, 0x3fb55555
	;; [unrolled: 1-line block ×4, first 2 shown]
	s_waitcnt vmcnt(0)
	v_add_f64 v[0:1], v[10:11], -v[0:1]
	buffer_load_dword v10, off, s[44:47], 0 offset:376 ; 4-byte Folded Reload
	buffer_load_dword v11, off, s[44:47], 0 offset:380 ; 4-byte Folded Reload
	;; [unrolled: 1-line block ×4, first 2 shown]
	v_mul_f64 v[0:1], v[0:1], s[0:1]
	s_waitcnt vmcnt(0)
	v_add_f64 v[10:11], v[10:11], -v[12:13]
	v_fma_f64 v[0:1], v[10:11], s[2:3], -v[0:1]
	buffer_load_dword v10, off, s[44:47], 0 offset:464 ; 4-byte Folded Reload
	buffer_load_dword v11, off, s[44:47], 0 offset:468 ; 4-byte Folded Reload
	buffer_load_dword v12, off, s[44:47], 0 offset:488 ; 4-byte Folded Reload
	buffer_load_dword v13, off, s[44:47], 0 offset:492 ; 4-byte Folded Reload
	s_waitcnt vmcnt(0)
	v_add_f64 v[10:11], v[12:13], -v[10:11]
	buffer_load_dword v12, off, s[44:47], 0 offset:344 ; 4-byte Folded Reload
	buffer_load_dword v13, off, s[44:47], 0 offset:348 ; 4-byte Folded Reload
	;; [unrolled: 1-line block ×4, first 2 shown]
	v_mul_f64 v[10:11], v[10:11], s[0:1]
	s_waitcnt vmcnt(0)
	v_add_f64 v[12:13], v[12:13], -v[18:19]
	v_fma_f64 v[10:11], v[12:13], s[2:3], -v[10:11]
	buffer_load_dword v12, off, s[44:47], 0 offset:848 ; 4-byte Folded Reload
	buffer_load_dword v13, off, s[44:47], 0 offset:852 ; 4-byte Folded Reload
	s_waitcnt vmcnt(0)
	v_mul_f64 v[0:1], v[12:13], v[0:1]
	buffer_load_dword v12, off, s[44:47], 0 offset:856 ; 4-byte Folded Reload
	buffer_load_dword v13, off, s[44:47], 0 offset:860 ; 4-byte Folded Reload
	s_waitcnt vmcnt(0)
	v_fma_f64 v[0:1], v[12:13], v[10:11], -v[0:1]
	buffer_store_dword v0, off, s[44:47], 0 offset:848 ; 4-byte Folded Spill
	s_nop 0
	buffer_store_dword v1, off, s[44:47], 0 offset:852 ; 4-byte Folded Spill
	buffer_load_dword v0, off, s[44:47], 0 offset:496 ; 4-byte Folded Reload
	s_nop 0
	buffer_load_dword v1, off, s[44:47], 0 offset:500 ; 4-byte Folded Reload
	buffer_load_dword v10, off, s[44:47], 0 offset:520 ; 4-byte Folded Reload
	;; [unrolled: 1-line block ×3, first 2 shown]
	s_waitcnt vmcnt(0)
	v_add_f64 v[0:1], v[10:11], -v[0:1]
	buffer_load_dword v10, off, s[44:47], 0 offset:448 ; 4-byte Folded Reload
	buffer_load_dword v11, off, s[44:47], 0 offset:452 ; 4-byte Folded Reload
	;; [unrolled: 1-line block ×4, first 2 shown]
	v_mul_f64 v[0:1], v[0:1], s[0:1]
	s_waitcnt vmcnt(0)
	v_add_f64 v[10:11], v[12:13], -v[10:11]
	v_fma_f64 v[0:1], v[10:11], s[2:3], -v[0:1]
	buffer_load_dword v10, off, s[44:47], 0 offset:480 ; 4-byte Folded Reload
	buffer_load_dword v11, off, s[44:47], 0 offset:484 ; 4-byte Folded Reload
	;; [unrolled: 1-line block ×4, first 2 shown]
	s_waitcnt vmcnt(0)
	v_add_f64 v[10:11], v[12:13], -v[10:11]
	buffer_load_dword v12, off, s[44:47], 0 offset:416 ; 4-byte Folded Reload
	buffer_load_dword v13, off, s[44:47], 0 offset:420 ; 4-byte Folded Reload
	;; [unrolled: 1-line block ×4, first 2 shown]
	v_mul_f64 v[10:11], v[10:11], s[0:1]
	s_waitcnt vmcnt(0)
	v_add_f64 v[12:13], v[18:19], -v[12:13]
	v_fma_f64 v[10:11], v[12:13], s[2:3], -v[10:11]
	buffer_load_dword v12, off, s[44:47], 0 offset:840 ; 4-byte Folded Reload
	buffer_load_dword v13, off, s[44:47], 0 offset:844 ; 4-byte Folded Reload
	s_waitcnt vmcnt(0)
	v_mul_f64 v[0:1], v[12:13], v[0:1]
	buffer_load_dword v12, off, s[44:47], 0 offset:832 ; 4-byte Folded Reload
	buffer_load_dword v13, off, s[44:47], 0 offset:836 ; 4-byte Folded Reload
	s_waitcnt vmcnt(0)
	v_fma_f64 v[0:1], v[12:13], v[10:11], -v[0:1]
	buffer_store_dword v0, off, s[44:47], 0 offset:832 ; 4-byte Folded Spill
	s_nop 0
	buffer_store_dword v1, off, s[44:47], 0 offset:836 ; 4-byte Folded Spill
	buffer_load_dword v0, off, s[44:47], 0 offset:336 ; 4-byte Folded Reload
	s_nop 0
	buffer_load_dword v1, off, s[44:47], 0 offset:340 ; 4-byte Folded Reload
	buffer_load_dword v10, off, s[44:47], 0 offset:352 ; 4-byte Folded Reload
	;; [unrolled: 1-line block ×3, first 2 shown]
	s_waitcnt vmcnt(0)
	v_add_f64 v[0:1], v[0:1], -v[10:11]
	buffer_load_dword v10, off, s[44:47], 0 offset:272 ; 4-byte Folded Reload
	buffer_load_dword v11, off, s[44:47], 0 offset:276 ; 4-byte Folded Reload
	;; [unrolled: 1-line block ×4, first 2 shown]
	v_mul_f64 v[0:1], v[0:1], s[0:1]
	s_waitcnt vmcnt(0)
	v_add_f64 v[10:11], v[10:11], -v[12:13]
	v_fma_f64 v[0:1], v[10:11], s[2:3], -v[0:1]
	buffer_load_dword v10, off, s[44:47], 0 offset:368 ; 4-byte Folded Reload
	buffer_load_dword v11, off, s[44:47], 0 offset:372 ; 4-byte Folded Reload
	;; [unrolled: 1-line block ×4, first 2 shown]
	s_waitcnt vmcnt(0)
	v_add_f64 v[10:11], v[10:11], -v[12:13]
	buffer_load_dword v12, off, s[44:47], 0 offset:288 ; 4-byte Folded Reload
	buffer_load_dword v13, off, s[44:47], 0 offset:292 ; 4-byte Folded Reload
	;; [unrolled: 1-line block ×4, first 2 shown]
	v_mul_f64 v[10:11], v[10:11], s[0:1]
	s_waitcnt vmcnt(0)
	v_add_f64 v[12:13], v[12:13], -v[18:19]
	v_fma_f64 v[10:11], v[12:13], s[2:3], -v[10:11]
	buffer_load_dword v18, off, s[44:47], 0 offset:120 ; 4-byte Folded Reload
	buffer_load_dword v19, off, s[44:47], 0 offset:124 ; 4-byte Folded Reload
	;; [unrolled: 1-line block ×4, first 2 shown]
	s_waitcnt vmcnt(0)
	v_mul_f64 v[12:13], v[18:19], v[12:13]
	v_mul_f64 v[12:13], v[18:19], v[12:13]
	;; [unrolled: 1-line block ×3, first 2 shown]
	buffer_load_dword v18, off, s[44:47], 0 offset:168 ; 4-byte Folded Reload
	buffer_load_dword v19, off, s[44:47], 0 offset:172 ; 4-byte Folded Reload
	buffer_load_dword v12, off, s[44:47], 0 offset:176 ; 4-byte Folded Reload
	buffer_load_dword v13, off, s[44:47], 0 offset:180 ; 4-byte Folded Reload
	s_waitcnt vmcnt(0)
	v_mul_f64 v[12:13], v[18:19], v[12:13]
	v_mul_f64 v[12:13], v[18:19], v[12:13]
	v_fma_f64 v[0:1], v[12:13], v[0:1], -v[10:11]
	buffer_store_dword v0, off, s[44:47], 0 offset:840 ; 4-byte Folded Spill
	s_nop 0
	buffer_store_dword v1, off, s[44:47], 0 offset:844 ; 4-byte Folded Spill
	buffer_load_dword v0, off, s[44:47], 0 offset:392 ; 4-byte Folded Reload
	s_nop 0
	buffer_load_dword v1, off, s[44:47], 0 offset:396 ; 4-byte Folded Reload
	buffer_load_dword v10, off, s[44:47], 0 offset:400 ; 4-byte Folded Reload
	buffer_load_dword v11, off, s[44:47], 0 offset:404 ; 4-byte Folded Reload
	s_waitcnt vmcnt(0)
	v_add_f64 v[0:1], v[10:11], -v[0:1]
	buffer_load_dword v10, off, s[44:47], 0 offset:304 ; 4-byte Folded Reload
	buffer_load_dword v11, off, s[44:47], 0 offset:308 ; 4-byte Folded Reload
	;; [unrolled: 1-line block ×4, first 2 shown]
	v_mul_f64 v[0:1], v[0:1], s[0:1]
	s_waitcnt vmcnt(0)
	v_add_f64 v[10:11], v[12:13], -v[10:11]
	v_fma_f64 v[0:1], v[10:11], s[2:3], -v[0:1]
	buffer_load_dword v10, off, s[44:47], 0 offset:432 ; 4-byte Folded Reload
	buffer_load_dword v11, off, s[44:47], 0 offset:436 ; 4-byte Folded Reload
	;; [unrolled: 1-line block ×4, first 2 shown]
	s_waitcnt vmcnt(0)
	v_add_f64 v[10:11], v[12:13], -v[10:11]
	buffer_load_dword v12, off, s[44:47], 0 offset:328 ; 4-byte Folded Reload
	buffer_load_dword v13, off, s[44:47], 0 offset:332 ; 4-byte Folded Reload
	;; [unrolled: 1-line block ×4, first 2 shown]
	v_mul_f64 v[10:11], v[10:11], s[0:1]
	s_waitcnt vmcnt(0)
	v_add_f64 v[12:13], v[18:19], -v[12:13]
	v_fma_f64 v[10:11], v[12:13], s[2:3], -v[10:11]
	buffer_load_dword v18, off, s[44:47], 0 offset:104 ; 4-byte Folded Reload
	buffer_load_dword v19, off, s[44:47], 0 offset:108 ; 4-byte Folded Reload
	;; [unrolled: 1-line block ×4, first 2 shown]
	s_waitcnt vmcnt(0)
	v_mul_f64 v[12:13], v[18:19], v[12:13]
	v_mul_f64 v[12:13], v[18:19], v[12:13]
	;; [unrolled: 1-line block ×3, first 2 shown]
	buffer_load_dword v18, off, s[44:47], 0 offset:96 ; 4-byte Folded Reload
	buffer_load_dword v19, off, s[44:47], 0 offset:100 ; 4-byte Folded Reload
	;; [unrolled: 1-line block ×4, first 2 shown]
	s_waitcnt vmcnt(0)
	v_mul_f64 v[12:13], v[18:19], v[12:13]
	v_mul_f64 v[12:13], v[18:19], v[12:13]
	v_fma_f64 v[0:1], v[12:13], v[0:1], -v[10:11]
	buffer_store_dword v0, off, s[44:47], 0 offset:856 ; 4-byte Folded Spill
	s_nop 0
	buffer_store_dword v1, off, s[44:47], 0 offset:860 ; 4-byte Folded Spill
	buffer_load_dword v0, off, s[44:47], 0 offset:800 ; 4-byte Folded Reload
	s_nop 0
	buffer_load_dword v1, off, s[44:47], 0 offset:804 ; 4-byte Folded Reload
	buffer_load_dword v10, off, s[44:47], 0 offset:544 ; 4-byte Folded Reload
	;; [unrolled: 1-line block ×11, first 2 shown]
	s_waitcnt vmcnt(8)
	v_mul_f64 v[0:1], v[0:1], v[10:11]
	s_waitcnt vmcnt(2)
	v_mul_f64 v[10:11], v[12:13], v[22:23]
	buffer_load_dword v22, off, s[44:47], 0 offset:48 ; 4-byte Folded Reload
	buffer_load_dword v23, off, s[44:47], 0 offset:52 ; 4-byte Folded Reload
	;; [unrolled: 1-line block ×4, first 2 shown]
	s_waitcnt vmcnt(2)
	v_mul_f64 v[10:11], v[22:23], v[10:11]
	v_mul_f64 v[0:1], v[22:23], v[0:1]
	buffer_load_dword v22, off, s[44:47], 0 offset:64 ; 4-byte Folded Reload
	buffer_load_dword v23, off, s[44:47], 0 offset:68 ; 4-byte Folded Reload
	;; [unrolled: 1-line block ×4, first 2 shown]
	v_mul_f64 v[10:11], v[53:54], v[10:11]
	v_mul_f64 v[10:11], v[2:3], v[10:11]
	s_waitcnt vmcnt(2)
	v_mul_f64 v[0:1], v[22:23], v[0:1]
	buffer_load_dword v22, off, s[44:47], 0 offset:528 ; 4-byte Folded Reload
	buffer_load_dword v23, off, s[44:47], 0 offset:532 ; 4-byte Folded Reload
	;; [unrolled: 1-line block ×4, first 2 shown]
	v_fma_f64 v[0:1], v[44:45], v[0:1], v[10:11]
	s_waitcnt vmcnt(2)
	v_mul_f64 v[10:11], v[12:13], v[22:23]
	buffer_load_dword v22, off, s[44:47], 0 offset:48 ; 4-byte Folded Reload
	buffer_load_dword v23, off, s[44:47], 0 offset:52 ; 4-byte Folded Reload
	buffer_load_dword v24, off, s[44:47], 0 offset:56 ; 4-byte Folded Reload
	buffer_load_dword v25, off, s[44:47], 0 offset:60 ; 4-byte Folded Reload
	s_waitcnt vmcnt(2)
	v_mul_f64 v[10:11], v[22:23], v[10:11]
	v_fma_f64 v[0:1], v[48:49], v[10:11], v[0:1]
	buffer_store_dword v0, off, s[44:47], 0 offset:800 ; 4-byte Folded Spill
	s_nop 0
	buffer_store_dword v1, off, s[44:47], 0 offset:804 ; 4-byte Folded Spill
	buffer_load_dword v50, off, s[44:47], 0 offset:192 ; 4-byte Folded Reload
	buffer_load_dword v51, off, s[44:47], 0 offset:196 ; 4-byte Folded Reload
	;; [unrolled: 1-line block ×6, first 2 shown]
	s_waitcnt vmcnt(0)
	v_mul_f64 v[10:11], v[50:51], v[24:25]
	buffer_store_dword v10, off, s[44:47], 0 offset:1088 ; 4-byte Folded Spill
	s_nop 0
	buffer_store_dword v11, off, s[44:47], 0 offset:1092 ; 4-byte Folded Spill
	buffer_load_dword v10, off, s[44:47], 0 offset:264 ; 4-byte Folded Reload
	s_nop 0
	buffer_load_dword v11, off, s[44:47], 0 offset:268 ; 4-byte Folded Reload
	s_waitcnt vmcnt(0)
	v_mul_f64 v[0:1], v[10:11], v[22:23]
	buffer_store_dword v0, off, s[44:47], 0 offset:1080 ; 4-byte Folded Spill
	s_nop 0
	buffer_store_dword v1, off, s[44:47], 0 offset:1084 ; 4-byte Folded Spill
	buffer_load_dword v0, off, s[44:47], 0 offset:256 ; 4-byte Folded Reload
	s_nop 0
	buffer_load_dword v1, off, s[44:47], 0 offset:260 ; 4-byte Folded Reload
	;; [unrolled: 8-line block ×3, first 2 shown]
	buffer_load_dword v22, off, s[44:47], 0 offset:544 ; 4-byte Folded Reload
	buffer_load_dword v23, off, s[44:47], 0 offset:548 ; 4-byte Folded Reload
	;; [unrolled: 1-line block ×4, first 2 shown]
	s_waitcnt vmcnt(0)
	v_mul_f64 v[18:19], v[12:13], v[24:25]
	v_mul_f64 v[12:13], v[10:11], v[22:23]
	buffer_store_dword v12, off, s[44:47], 0 offset:560 ; 4-byte Folded Spill
	s_nop 0
	buffer_store_dword v13, off, s[44:47], 0 offset:564 ; 4-byte Folded Spill
	v_mul_f64 v[12:13], v[0:1], v[24:25]
	buffer_store_dword v12, off, s[44:47], 0 offset:544 ; 4-byte Folded Spill
	s_nop 0
	buffer_store_dword v13, off, s[44:47], 0 offset:548 ; 4-byte Folded Spill
	buffer_load_dword v22, off, s[44:47], 0 offset:528 ; 4-byte Folded Reload
	buffer_load_dword v23, off, s[44:47], 0 offset:532 ; 4-byte Folded Reload
	;; [unrolled: 1-line block ×4, first 2 shown]
	s_waitcnt vmcnt(2)
	v_mul_f64 v[62:63], v[10:11], v[22:23]
	s_waitcnt vmcnt(0)
	v_mul_f64 v[55:56], v[0:1], v[24:25]
	v_mul_f64 v[50:51], v[50:51], v[24:25]
	buffer_load_dword v22, off, s[44:47], 0 offset:48 ; 4-byte Folded Reload
	buffer_load_dword v23, off, s[44:47], 0 offset:52 ; 4-byte Folded Reload
	;; [unrolled: 1-line block ×10, first 2 shown]
	s_waitcnt vmcnt(6)
	v_mul_f64 v[18:19], v[24:25], v[18:19]
	s_waitcnt vmcnt(2)
	v_mul_f64 v[10:11], v[24:25], v[50:51]
	v_mul_f64 v[0:1], v[24:25], v[0:1]
	s_waitcnt vmcnt(0)
	v_mul_f64 v[18:19], v[12:13], v[18:19]
	v_mul_f64 v[12:13], v[24:25], v[55:56]
	;; [unrolled: 1-line block ×5, first 2 shown]
	v_fma_f64 v[0:1], v[40:41], v[18:19], v[0:1]
	v_mul_f64 v[18:19], v[22:23], v[62:63]
	v_fma_f64 v[0:1], v[42:43], v[10:11], v[0:1]
	buffer_store_dword v0, off, s[44:47], 0 offset:528 ; 4-byte Folded Spill
	s_nop 0
	buffer_store_dword v1, off, s[44:47], 0 offset:532 ; 4-byte Folded Spill
	buffer_load_dword v0, off, s[44:47], 0 offset:560 ; 4-byte Folded Reload
	s_nop 0
	buffer_load_dword v1, off, s[44:47], 0 offset:564 ; 4-byte Folded Reload
	v_mul_f64 v[18:19], v[44:45], v[18:19]
	s_waitcnt vmcnt(0)
	v_mul_f64 v[0:1], v[22:23], v[0:1]
	v_mul_f64 v[10:11], v[53:54], v[0:1]
	v_mul_f64 v[0:1], v[48:49], v[0:1]
	buffer_load_dword v48, off, s[44:47], 0 offset:64 ; 4-byte Folded Reload
	buffer_load_dword v49, off, s[44:47], 0 offset:68 ; 4-byte Folded Reload
	buffer_load_dword v50, off, s[44:47], 0 offset:72 ; 4-byte Folded Reload
	buffer_load_dword v51, off, s[44:47], 0 offset:76 ; 4-byte Folded Reload
	s_waitcnt vmcnt(2)
	v_fma_f64 v[0:1], v[48:49], v[0:1], v[18:19]
	buffer_store_dword v0, off, s[44:47], 0 offset:256 ; 4-byte Folded Spill
	s_nop 0
	buffer_store_dword v1, off, s[44:47], 0 offset:260 ; 4-byte Folded Spill
	buffer_load_dword v0, off, s[44:47], 0 offset:544 ; 4-byte Folded Reload
	s_nop 0
	buffer_load_dword v1, off, s[44:47], 0 offset:548 ; 4-byte Folded Reload
	s_waitcnt vmcnt(0)
	v_mul_f64 v[0:1], v[24:25], v[0:1]
	v_mul_f64 v[18:19], v[46:47], v[0:1]
	;; [unrolled: 1-line block ×3, first 2 shown]
	v_mov_b32_e32 v46, v48
	v_mov_b32_e32 v47, v49
	;; [unrolled: 1-line block ×4, first 2 shown]
	v_fma_f64 v[0:1], v[48:49], v[0:1], v[12:13]
	buffer_store_dword v0, off, s[44:47], 0 offset:264 ; 4-byte Folded Spill
	s_nop 0
	buffer_store_dword v1, off, s[44:47], 0 offset:268 ; 4-byte Folded Spill
	v_mul_f64 v[0:1], v[46:47], v[10:11]
	v_mul_f64 v[10:11], v[48:49], v[18:19]
	buffer_load_dword v12, off, s[44:47], 0 offset:1080 ; 4-byte Folded Reload
	buffer_load_dword v13, off, s[44:47], 0 offset:1084 ; 4-byte Folded Reload
	buffer_load_dword v18, off, s[44:47], 0 offset:32 ; 4-byte Folded Reload
	buffer_load_dword v19, off, s[44:47], 0 offset:36 ; 4-byte Folded Reload
	s_waitcnt vmcnt(2)
	v_mul_f64 v[12:13], v[22:23], v[12:13]
	s_waitcnt vmcnt(0)
	v_mul_f64 v[0:1], v[18:19], v[0:1]
	v_mul_f64 v[10:11], v[18:19], v[10:11]
	v_mov_b32_e32 v47, v19
	v_mov_b32_e32 v46, v18
	v_fma_f64 v[0:1], v[44:45], v[12:13], v[0:1]
	buffer_store_dword v0, off, s[44:47], 0 offset:560 ; 4-byte Folded Spill
	s_nop 0
	buffer_store_dword v1, off, s[44:47], 0 offset:564 ; 4-byte Folded Spill
	buffer_load_dword v0, off, s[44:47], 0 offset:1096 ; 4-byte Folded Reload
	s_nop 0
	buffer_load_dword v1, off, s[44:47], 0 offset:1100 ; 4-byte Folded Reload
	s_waitcnt vmcnt(0)
	v_mul_f64 v[0:1], v[24:25], v[0:1]
	v_fma_f64 v[0:1], v[40:41], v[0:1], v[10:11]
	buffer_store_dword v0, off, s[44:47], 0 offset:544 ; 4-byte Folded Spill
	s_nop 0
	buffer_store_dword v1, off, s[44:47], 0 offset:548 ; 4-byte Folded Spill
	buffer_load_dword v0, off, s[44:47], 0 offset:752 ; 4-byte Folded Reload
	s_nop 0
	buffer_load_dword v1, off, s[44:47], 0 offset:756 ; 4-byte Folded Reload
	buffer_load_dword v50, off, s[44:47], 0 offset:1032 ; 4-byte Folded Reload
	;; [unrolled: 1-line block ×19, first 2 shown]
	s_waitcnt vmcnt(14)
	v_mul_f64 v[0:1], v[0:1], v[52:53]
	s_waitcnt vmcnt(8)
	v_mul_f64 v[10:11], v[40:41], v[24:25]
	;; [unrolled: 2-line block ×3, first 2 shown]
	v_mul_f64 v[10:11], v[42:43], v[10:11]
	s_waitcnt vmcnt(4)
	v_mul_f64 v[0:1], v[18:19], v[0:1]
	v_mul_f64 v[10:11], v[38:39], v[10:11]
	v_mul_f64 v[10:11], v[2:3], v[10:11]
	v_fma_f64 v[0:1], v[36:37], v[0:1], v[10:11]
	s_waitcnt vmcnt(0)
	v_mul_f64 v[10:11], v[40:41], v[56:57]
	v_mul_f64 v[10:11], v[42:43], v[10:11]
	v_fma_f64 v[0:1], v[34:35], v[10:11], v[0:1]
	buffer_store_dword v0, off, s[44:47], 0 offset:752 ; 4-byte Folded Spill
	s_nop 0
	buffer_store_dword v1, off, s[44:47], 0 offset:756 ; 4-byte Folded Spill
	buffer_load_dword v44, off, s[44:47], 0 offset:248 ; 4-byte Folded Reload
	buffer_load_dword v45, off, s[44:47], 0 offset:252 ; 4-byte Folded Reload
	s_waitcnt vmcnt(0)
	v_mul_f64 v[0:1], v[44:45], v[52:53]
	v_mul_f64 v[12:13], v[44:45], v[24:25]
	v_mov_b32_e32 v24, v46
	v_mov_b32_e32 v25, v47
	v_mul_f64 v[0:1], v[42:43], v[0:1]
	v_mul_f64 v[12:13], v[42:43], v[12:13]
	v_mul_f64 v[10:11], v[38:39], v[0:1]
	v_mul_f64 v[0:1], v[34:35], v[0:1]
	v_mul_f64 v[10:11], v[18:19], v[10:11]
	v_mul_f64 v[10:11], v[46:47], v[10:11]
	v_fma_f64 v[10:11], v[36:37], v[12:13], v[10:11]
	buffer_store_dword v10, off, s[44:47], 0 offset:768 ; 4-byte Folded Spill
	s_nop 0
	buffer_store_dword v11, off, s[44:47], 0 offset:772 ; 4-byte Folded Spill
	v_mul_f64 v[10:11], v[44:45], v[56:57]
	v_mul_f64 v[10:11], v[42:43], v[10:11]
	v_mul_f64 v[10:11], v[36:37], v[10:11]
	v_fma_f64 v[0:1], v[18:19], v[0:1], v[10:11]
	buffer_store_dword v0, off, s[44:47], 0 offset:240 ; 4-byte Folded Spill
	s_nop 0
	buffer_store_dword v1, off, s[44:47], 0 offset:244 ; 4-byte Folded Spill
	buffer_load_dword v36, off, s[44:47], 0 offset:1000 ; 4-byte Folded Reload
	buffer_load_dword v37, off, s[44:47], 0 offset:1004 ; 4-byte Folded Reload
	;; [unrolled: 1-line block ×10, first 2 shown]
	s_waitcnt vmcnt(8)
	v_mul_f64 v[0:1], v[2:3], v[36:37]
	s_waitcnt vmcnt(4)
	v_fma_f64 v[10:11], v[44:45], 2.0, v[48:49]
	s_waitcnt vmcnt(0)
	v_mul_f64 v[34:35], v[38:39], v[38:39]
	v_mul_f64 v[0:1], v[36:37], v[0:1]
	;; [unrolled: 1-line block ×5, first 2 shown]
	v_fma_f64 v[18:19], v[38:39], v[38:39], v[0:1]
	v_mul_f64 v[12:13], v[46:47], v[12:13]
	v_mul_f64 v[18:19], v[44:45], v[18:19]
	v_fma_f64 v[12:13], v[6:7], v[12:13], v[18:19]
	v_mul_f64 v[18:19], v[6:7], v[46:47]
	v_mul_f64 v[18:19], v[46:47], v[18:19]
	v_fma_f64 v[34:35], v[6:7], v[18:19], v[34:35]
	v_fma_f64 v[0:1], v[6:7], v[18:19], v[0:1]
	v_mul_f64 v[18:19], v[10:11], v[36:37]
	v_mul_f64 v[10:11], v[10:11], v[38:39]
	;; [unrolled: 1-line block ×5, first 2 shown]
	v_fma_f64 v[0:1], v[38:39], v[10:11], v[0:1]
	v_mul_f64 v[18:19], v[36:37], v[18:19]
	v_fma_f64 v[18:19], v[2:3], v[18:19], v[34:35]
	v_add_f64 v[34:35], v[44:45], v[48:49]
	buffer_load_dword v44, off, s[44:47], 0 offset:960 ; 4-byte Folded Reload
	buffer_load_dword v45, off, s[44:47], 0 offset:964 ; 4-byte Folded Reload
	s_waitcnt vmcnt(0)
	v_mul_f64 v[10:11], v[44:45], v[34:35]
	v_mul_f64 v[12:13], v[44:45], v[12:13]
	;; [unrolled: 1-line block ×9, first 2 shown]
	buffer_load_dword v38, off, s[44:47], 0 offset:928 ; 4-byte Folded Reload
	buffer_load_dword v39, off, s[44:47], 0 offset:932 ; 4-byte Folded Reload
	;; [unrolled: 1-line block ×8, first 2 shown]
	v_mul_f64 v[34:35], v[24:25], v[34:35]
	s_waitcnt vmcnt(6)
	v_mul_f64 v[12:13], v[38:39], v[12:13]
	v_mul_f64 v[18:19], v[38:39], v[18:19]
	;; [unrolled: 1-line block ×3, first 2 shown]
	buffer_load_dword v38, off, s[44:47], 0 offset:968 ; 4-byte Folded Reload
	buffer_load_dword v39, off, s[44:47], 0 offset:972 ; 4-byte Folded Reload
	s_waitcnt vmcnt(2)
	v_mul_f64 v[10:11], v[52:53], v[10:11]
	v_mul_f64 v[12:13], v[46:47], v[12:13]
	;; [unrolled: 1-line block ×3, first 2 shown]
	v_fma_f64 v[12:13], v[36:37], v[48:49], v[12:13]
	v_fma_f64 v[18:19], v[36:37], v[46:47], v[18:19]
	v_mul_f64 v[36:37], v[10:11], v[48:49]
	v_fma_f64 v[36:37], v[46:47], v[34:35], v[36:37]
	s_waitcnt vmcnt(0)
	v_fma_f64 v[12:13], v[34:35], v[38:39], v[12:13]
	v_fma_f64 v[10:11], v[10:11], v[38:39], v[18:19]
	;; [unrolled: 1-line block ×3, first 2 shown]
	buffer_store_dword v12, off, s[44:47], 0 offset:248 ; 4-byte Folded Spill
	s_nop 0
	buffer_store_dword v13, off, s[44:47], 0 offset:252 ; 4-byte Folded Spill
	buffer_store_dword v10, off, s[44:47], 0 offset:928 ; 4-byte Folded Spill
	s_nop 0
	buffer_store_dword v11, off, s[44:47], 0 offset:932 ; 4-byte Folded Spill
	;; [unrolled: 3-line block ×3, first 2 shown]
	buffer_load_dword v0, off, s[44:47], 0 offset:504 ; 4-byte Folded Reload
	s_nop 0
	buffer_load_dword v1, off, s[44:47], 0 offset:508 ; 4-byte Folded Reload
	buffer_load_dword v10, off, s[44:47], 0 offset:488 ; 4-byte Folded Reload
	;; [unrolled: 1-line block ×7, first 2 shown]
	s_waitcnt vmcnt(4)
	v_add_f64 v[0:1], v[10:11], -v[0:1]
	s_waitcnt vmcnt(0)
	v_add_f64 v[12:13], v[18:19], -v[12:13]
	buffer_load_dword v18, off, s[44:47], 0 offset:472 ; 4-byte Folded Reload
	buffer_load_dword v19, off, s[44:47], 0 offset:476 ; 4-byte Folded Reload
	;; [unrolled: 1-line block ×4, first 2 shown]
	v_mul_f64 v[10:11], v[40:41], v[42:43]
	v_mul_f64 v[0:1], v[0:1], s[0:1]
	;; [unrolled: 1-line block ×3, first 2 shown]
	v_fma_f64 v[0:1], v[12:13], s[2:3], -v[0:1]
	s_waitcnt vmcnt(0)
	v_add_f64 v[18:19], v[24:25], -v[18:19]
	buffer_load_dword v12, off, s[44:47], 0 offset:496 ; 4-byte Folded Reload
	buffer_load_dword v13, off, s[44:47], 0 offset:500 ; 4-byte Folded Reload
	;; [unrolled: 1-line block ×4, first 2 shown]
	v_mul_f64 v[18:19], v[18:19], s[0:1]
	s_waitcnt vmcnt(0)
	v_add_f64 v[12:13], v[24:25], -v[12:13]
	v_fma_f64 v[12:13], v[12:13], s[2:3], -v[18:19]
	buffer_load_dword v18, off, s[44:47], 0 offset:224 ; 4-byte Folded Reload
	buffer_load_dword v19, off, s[44:47], 0 offset:228 ; 4-byte Folded Reload
	;; [unrolled: 1-line block ×6, first 2 shown]
	s_waitcnt vmcnt(2)
	v_mul_f64 v[18:19], v[18:19], v[34:35]
	s_waitcnt vmcnt(0)
	v_mov_b32_e32 v24, v36
	v_mov_b32_e32 v25, v37
	v_mul_f64 v[18:19], v[34:35], v[18:19]
	v_mul_f64 v[12:13], v[18:19], v[12:13]
	v_fma_f64 v[0:1], v[10:11], v[0:1], -v[12:13]
	buffer_store_dword v0, off, s[44:47], 0 offset:224 ; 4-byte Folded Spill
	s_nop 0
	buffer_store_dword v1, off, s[44:47], 0 offset:228 ; 4-byte Folded Spill
	buffer_load_dword v42, off, s[44:47], 0 offset:696 ; 4-byte Folded Reload
	buffer_load_dword v43, off, s[44:47], 0 offset:700 ; 4-byte Folded Reload
	;; [unrolled: 1-line block ×10, first 2 shown]
	s_waitcnt vmcnt(8)
	v_mul_f64 v[0:1], v[42:43], v[22:23]
	v_mul_f64 v[36:37], v[42:43], v[54:55]
	s_waitcnt vmcnt(6)
	v_mul_f64 v[10:11], v[34:35], v[22:23]
	v_mul_f64 v[18:19], v[34:35], v[50:51]
	;; [unrolled: 1-line block ×3, first 2 shown]
	s_waitcnt vmcnt(4)
	v_mul_f64 v[12:13], v[12:13], v[50:51]
	s_waitcnt vmcnt(0)
	v_mul_f64 v[38:39], v[42:43], v[40:41]
	v_mul_f64 v[48:49], v[40:41], v[0:1]
	;; [unrolled: 1-line block ×3, first 2 shown]
	buffer_store_dword v0, off, s[44:47], 0 offset:472 ; 4-byte Folded Spill
	s_nop 0
	buffer_store_dword v1, off, s[44:47], 0 offset:476 ; 4-byte Folded Spill
	v_mul_f64 v[0:1], v[40:41], v[10:11]
	buffer_store_dword v0, off, s[44:47], 0 offset:216 ; 4-byte Folded Spill
	s_nop 0
	buffer_store_dword v1, off, s[44:47], 0 offset:220 ; 4-byte Folded Spill
	v_mul_f64 v[0:1], v[40:41], v[18:19]
	buffer_store_dword v0, off, s[44:47], 0 offset:464 ; 4-byte Folded Spill
	s_nop 0
	buffer_store_dword v1, off, s[44:47], 0 offset:468 ; 4-byte Folded Spill
	v_mul_f64 v[0:1], v[40:41], v[34:35]
	buffer_store_dword v0, off, s[44:47], 0 offset:232 ; 4-byte Folded Spill
	s_nop 0
	buffer_store_dword v1, off, s[44:47], 0 offset:236 ; 4-byte Folded Spill
	v_mul_f64 v[54:55], v[40:41], v[12:13]
	buffer_load_dword v10, off, s[44:47], 0 offset:192 ; 4-byte Folded Reload
	buffer_load_dword v11, off, s[44:47], 0 offset:196 ; 4-byte Folded Reload
	;; [unrolled: 1-line block ×6, first 2 shown]
	v_mul_f64 v[0:1], v[40:41], v[38:39]
	s_waitcnt vmcnt(4)
	v_mul_f64 v[10:11], v[10:11], v[24:25]
	s_waitcnt vmcnt(0)
	v_add_f64 v[12:13], v[18:19], -v[12:13]
	buffer_load_dword v18, off, s[44:47], 0 offset:376 ; 4-byte Folded Reload
	buffer_load_dword v19, off, s[44:47], 0 offset:380 ; 4-byte Folded Reload
	;; [unrolled: 1-line block ×4, first 2 shown]
	v_mul_f64 v[10:11], v[24:25], v[10:11]
	v_mul_f64 v[12:13], v[12:13], s[0:1]
	s_waitcnt vmcnt(0)
	v_add_f64 v[18:19], v[22:23], -v[18:19]
	buffer_load_dword v22, off, s[44:47], 0 offset:456 ; 4-byte Folded Reload
	buffer_load_dword v23, off, s[44:47], 0 offset:460 ; 4-byte Folded Reload
	;; [unrolled: 1-line block ×4, first 2 shown]
	v_mul_f64 v[18:19], v[18:19], s[0:1]
	s_waitcnt vmcnt(0)
	v_add_f64 v[34:35], v[24:25], -v[22:23]
	buffer_load_dword v22, off, s[44:47], 0 offset:448 ; 4-byte Folded Reload
	buffer_load_dword v23, off, s[44:47], 0 offset:452 ; 4-byte Folded Reload
	buffer_load_dword v24, off, s[44:47], 0 offset:416 ; 4-byte Folded Reload
	buffer_load_dword v25, off, s[44:47], 0 offset:420 ; 4-byte Folded Reload
	v_fma_f64 v[18:19], v[34:35], s[2:3], -v[18:19]
	s_waitcnt vmcnt(0)
	v_add_f64 v[36:37], v[24:25], -v[22:23]
	v_fma_f64 v[12:13], v[36:37], s[2:3], -v[12:13]
	v_mul_f64 v[10:11], v[10:11], v[12:13]
	v_fma_f64 v[0:1], v[0:1], v[18:19], -v[10:11]
	buffer_store_dword v0, off, s[44:47], 0 offset:48 ; 4-byte Folded Spill
	s_nop 0
	buffer_store_dword v1, off, s[44:47], 0 offset:52 ; 4-byte Folded Spill
	buffer_load_dword v0, off, s[44:47], 0 offset:352 ; 4-byte Folded Reload
	s_nop 0
	buffer_load_dword v1, off, s[44:47], 0 offset:356 ; 4-byte Folded Reload
	buffer_load_dword v10, off, s[44:47], 0 offset:384 ; 4-byte Folded Reload
	;; [unrolled: 1-line block ×3, first 2 shown]
	s_waitcnt vmcnt(0)
	v_add_f64 v[0:1], v[0:1], -v[10:11]
	buffer_load_dword v10, off, s[44:47], 0 offset:336 ; 4-byte Folded Reload
	buffer_load_dword v11, off, s[44:47], 0 offset:340 ; 4-byte Folded Reload
	;; [unrolled: 1-line block ×4, first 2 shown]
	v_mul_f64 v[0:1], v[0:1], s[0:1]
	s_waitcnt vmcnt(0)
	v_add_f64 v[10:11], v[10:11], -v[12:13]
	buffer_load_dword v12, off, s[44:47], 0 offset:400 ; 4-byte Folded Reload
	buffer_load_dword v13, off, s[44:47], 0 offset:404 ; 4-byte Folded Reload
	;; [unrolled: 1-line block ×4, first 2 shown]
	v_mul_f64 v[10:11], v[10:11], s[0:1]
	s_waitcnt vmcnt(0)
	v_add_f64 v[12:13], v[12:13], -v[18:19]
	buffer_load_dword v18, off, s[44:47], 0 offset:392 ; 4-byte Folded Reload
	buffer_load_dword v19, off, s[44:47], 0 offset:396 ; 4-byte Folded Reload
	;; [unrolled: 1-line block ×4, first 2 shown]
	v_fma_f64 v[10:11], v[12:13], s[2:3], -v[10:11]
	buffer_load_dword v12, off, s[44:47], 0 offset:792 ; 4-byte Folded Reload
	buffer_load_dword v13, off, s[44:47], 0 offset:796 ; 4-byte Folded Reload
	s_waitcnt vmcnt(2)
	v_add_f64 v[18:19], v[18:19], -v[22:23]
	v_fma_f64 v[0:1], v[18:19], s[2:3], -v[0:1]
	s_waitcnt vmcnt(0)
	v_mul_f64 v[0:1], v[12:13], v[0:1]
	buffer_load_dword v12, off, s[44:47], 0 offset:816 ; 4-byte Folded Reload
	buffer_load_dword v13, off, s[44:47], 0 offset:820 ; 4-byte Folded Reload
	s_waitcnt vmcnt(0)
	v_fma_f64 v[0:1], v[12:13], v[10:11], -v[0:1]
	buffer_store_dword v0, off, s[44:47], 0 offset:192 ; 4-byte Folded Spill
	s_nop 0
	buffer_store_dword v1, off, s[44:47], 0 offset:196 ; 4-byte Folded Spill
	buffer_load_dword v0, off, s[44:47], 0 offset:280 ; 4-byte Folded Reload
	s_nop 0
	buffer_load_dword v1, off, s[44:47], 0 offset:284 ; 4-byte Folded Reload
	buffer_load_dword v10, off, s[44:47], 0 offset:296 ; 4-byte Folded Reload
	;; [unrolled: 1-line block ×3, first 2 shown]
	s_waitcnt vmcnt(0)
	v_add_f64 v[0:1], v[0:1], -v[10:11]
	buffer_load_dword v10, off, s[44:47], 0 offset:272 ; 4-byte Folded Reload
	buffer_load_dword v11, off, s[44:47], 0 offset:276 ; 4-byte Folded Reload
	;; [unrolled: 1-line block ×4, first 2 shown]
	v_mul_f64 v[0:1], v[0:1], s[0:1]
	s_waitcnt vmcnt(0)
	v_add_f64 v[10:11], v[10:11], -v[12:13]
	buffer_load_dword v12, off, s[44:47], 0 offset:312 ; 4-byte Folded Reload
	buffer_load_dword v13, off, s[44:47], 0 offset:316 ; 4-byte Folded Reload
	;; [unrolled: 1-line block ×4, first 2 shown]
	v_mul_f64 v[10:11], v[10:11], s[0:1]
	s_waitcnt vmcnt(0)
	v_add_f64 v[12:13], v[12:13], -v[18:19]
	buffer_load_dword v18, off, s[44:47], 0 offset:304 ; 4-byte Folded Reload
	buffer_load_dword v19, off, s[44:47], 0 offset:308 ; 4-byte Folded Reload
	;; [unrolled: 1-line block ×4, first 2 shown]
	v_fma_f64 v[10:11], v[12:13], s[2:3], -v[10:11]
	buffer_load_dword v12, off, s[44:47], 0 offset:784 ; 4-byte Folded Reload
	buffer_load_dword v13, off, s[44:47], 0 offset:788 ; 4-byte Folded Reload
	s_waitcnt vmcnt(2)
	v_add_f64 v[18:19], v[18:19], -v[22:23]
	v_mov_b32_e32 v22, s15
	v_fma_f64 v[0:1], v[18:19], s[2:3], -v[0:1]
	s_waitcnt vmcnt(0)
	v_mul_f64 v[0:1], v[12:13], v[0:1]
	buffer_load_dword v12, off, s[44:47], 0 offset:776 ; 4-byte Folded Reload
	buffer_load_dword v13, off, s[44:47], 0 offset:780 ; 4-byte Folded Reload
	s_waitcnt vmcnt(0)
	v_fma_f64 v[0:1], v[12:13], v[10:11], -v[0:1]
	buffer_store_dword v0, off, s[44:47], 0 offset:200 ; 4-byte Folded Spill
	s_nop 0
	buffer_store_dword v1, off, s[44:47], 0 offset:204 ; 4-byte Folded Spill
	buffer_load_dword v10, off, s[44:47], 0 offset:824 ; 4-byte Folded Reload
	buffer_load_dword v11, off, s[44:47], 0 offset:828 ; 4-byte Folded Reload
	v_mov_b32_e32 v0, s15
	v_mov_b32_e32 v12, s15
	s_waitcnt vmcnt(1)
	v_add_co_u32_e32 v18, vcc, s14, v10
	s_waitcnt vmcnt(0)
	v_addc_co_u32_e32 v19, vcc, v0, v11, vcc
	buffer_load_dword v10, off, s[44:47], 0 offset:760 ; 4-byte Folded Reload
	buffer_load_dword v11, off, s[44:47], 0 offset:764 ; 4-byte Folded Reload
	s_waitcnt vmcnt(1)
	v_add_co_u32_e32 v34, vcc, s14, v10
	s_waitcnt vmcnt(0)
	v_addc_co_u32_e32 v35, vcc, v0, v11, vcc
	buffer_load_dword v10, off, s[44:47], 0 offset:808 ; 4-byte Folded Reload
	buffer_load_dword v11, off, s[44:47], 0 offset:812 ; 4-byte Folded Reload
	;; [unrolled: 6-line block ×3, first 2 shown]
	s_waitcnt vmcnt(1)
	v_add_co_u32_e32 v38, vcc, s14, v10
	s_waitcnt vmcnt(0)
	v_addc_co_u32_e32 v39, vcc, v0, v11, vcc
	buffer_load_dword v0, off, s[44:47], 0 offset:676 ; 4-byte Folded Reload
	v_mov_b32_e32 v10, s15
	s_waitcnt vmcnt(0)
	v_add_u32_e32 v0, s16, v0
	v_ashrrev_i32_e32 v1, 31, v0
	v_lshlrev_b64 v[0:1], 3, v[0:1]
	v_add_co_u32_e32 v0, vcc, s14, v0
	v_addc_co_u32_e32 v1, vcc, v10, v1, vcc
	buffer_load_dword v10, off, s[44:47], 0 offset:652 ; 4-byte Folded Reload
	s_waitcnt vmcnt(0)
	v_add_u32_e32 v10, s16, v10
	v_ashrrev_i32_e32 v11, 31, v10
	v_lshlrev_b64 v[10:11], 3, v[10:11]
	v_add_co_u32_e32 v10, vcc, s14, v10
	v_addc_co_u32_e32 v11, vcc, v12, v11, vcc
	buffer_load_dword v12, off, s[44:47], 0 offset:656 ; 4-byte Folded Reload
	;; [unrolled: 7-line block ×3, first 2 shown]
	s_waitcnt vmcnt(0)
	v_add_u32_e32 v40, s16, v22
	v_ashrrev_i32_e32 v41, 31, v40
	v_lshlrev_b64 v[40:41], 3, v[40:41]
	v_mov_b32_e32 v22, s15
	v_add_co_u32_e32 v42, vcc, s14, v40
	v_addc_co_u32_e32 v43, vcc, v22, v41, vcc
	global_load_dwordx2 v[18:19], v[18:19], off
	s_nop 0
	global_load_dwordx2 v[40:41], v[34:35], off
	global_load_dwordx2 v[22:23], v[36:37], off
	s_waitcnt vmcnt(0)
	buffer_store_dword v22, off, s[44:47], 0 offset:328 ; 4-byte Folded Spill
	s_nop 0
	buffer_store_dword v23, off, s[44:47], 0 offset:332 ; 4-byte Folded Spill
	global_load_dwordx2 v[22:23], v[38:39], off
	s_waitcnt vmcnt(0)
	buffer_store_dword v22, off, s[44:47], 0 offset:320 ; 4-byte Folded Spill
	s_nop 0
	buffer_store_dword v23, off, s[44:47], 0 offset:324 ; 4-byte Folded Spill
	buffer_load_dword v22, off, s[44:47], 0 offset:680 ; 4-byte Folded Reload
	s_nop 0
	buffer_load_dword v23, off, s[44:47], 0 offset:684 ; 4-byte Folded Reload
	buffer_load_dword v24, off, s[44:47], 0 offset:168 ; 4-byte Folded Reload
	;; [unrolled: 1-line block ×3, first 2 shown]
	s_mov_b32 s16, -1
	s_waitcnt vmcnt(2)
	v_mul_f64 v[38:39], v[22:23], v[18:19]
	buffer_load_dword v22, off, s[44:47], 0 offset:660 ; 4-byte Folded Reload
	buffer_load_dword v23, off, s[44:47], 0 offset:664 ; 4-byte Folded Reload
	;; [unrolled: 1-line block ×4, first 2 shown]
	s_waitcnt vmcnt(4)
	v_mul_f64 v[38:39], v[24:25], v[38:39]
	v_mul_f64 v[38:39], v[58:59], v[38:39]
	s_waitcnt vmcnt(2)
	v_mul_f64 v[38:39], v[22:23], v[38:39]
	s_waitcnt vmcnt(0)
	v_mul_f64 v[44:45], v[46:47], v[40:41]
	v_mul_f64 v[38:39], v[52:53], v[38:39]
	;; [unrolled: 1-line block ×3, first 2 shown]
	v_fma_f64 v[34:35], v[60:61], v[44:45], v[38:39]
	buffer_store_dword v34, off, s[44:47], 0 offset:304 ; 4-byte Folded Spill
	s_nop 0
	buffer_store_dword v35, off, s[44:47], 0 offset:308 ; 4-byte Folded Spill
	buffer_load_dword v34, off, s[44:47], 0 offset:184 ; 4-byte Folded Reload
	s_nop 0
	buffer_load_dword v35, off, s[44:47], 0 offset:188 ; 4-byte Folded Reload
	v_mov_b32_e32 v44, v52
	v_mov_b32_e32 v45, v53
	s_waitcnt vmcnt(0)
	v_mul_f64 v[18:19], v[34:35], v[18:19]
	v_mul_f64 v[40:41], v[34:35], v[40:41]
	;; [unrolled: 1-line block ×8, first 2 shown]
	v_fma_f64 v[36:37], v[58:59], v[40:41], v[38:39]
	buffer_store_dword v36, off, s[44:47], 0 offset:272 ; 4-byte Folded Spill
	s_nop 0
	buffer_store_dword v37, off, s[44:47], 0 offset:276 ; 4-byte Folded Spill
	global_load_dwordx2 v[62:63], v[0:1], off
	s_nop 0
	global_load_dwordx2 v[0:1], v[10:11], off
	s_waitcnt vmcnt(0)
	buffer_store_dword v0, off, s[44:47], 0 offset:312 ; 4-byte Folded Spill
	s_nop 0
	buffer_store_dword v1, off, s[44:47], 0 offset:316 ; 4-byte Folded Spill
	global_load_dwordx2 v[0:1], v[12:13], off
	s_waitcnt vmcnt(0)
	buffer_store_dword v0, off, s[44:47], 0 offset:296 ; 4-byte Folded Spill
	s_nop 0
	buffer_store_dword v1, off, s[44:47], 0 offset:300 ; 4-byte Folded Spill
	;; [unrolled: 5-line block ×3, first 2 shown]
	v_mul_f64 v[0:1], v[34:35], v[62:63]
	v_mul_f64 v[10:11], v[28:29], v[18:19]
	;; [unrolled: 1-line block ×4, first 2 shown]
	v_fma_f64 v[0:1], v[22:23], v[10:11], v[0:1]
	buffer_store_dword v0, off, s[44:47], 0 offset:280 ; 4-byte Folded Spill
	s_nop 0
	buffer_store_dword v1, off, s[44:47], 0 offset:284 ; 4-byte Folded Spill
	buffer_load_dword v10, off, s[44:47], 0 offset:728 ; 4-byte Folded Reload
	buffer_load_dword v11, off, s[44:47], 0 offset:732 ; 4-byte Folded Reload
	v_mov_b32_e32 v0, s15
	s_waitcnt vmcnt(1)
	v_add_co_u32_e32 v38, vcc, s14, v10
	s_waitcnt vmcnt(0)
	v_addc_co_u32_e32 v39, vcc, v0, v11, vcc
	buffer_load_dword v10, off, s[44:47], 0 offset:668 ; 4-byte Folded Reload
	buffer_load_dword v11, off, s[44:47], 0 offset:672 ; 4-byte Folded Reload
	s_waitcnt vmcnt(1)
	v_add_co_u32_e32 v36, vcc, s14, v10
	s_waitcnt vmcnt(0)
	v_addc_co_u32_e32 v37, vcc, v0, v11, vcc
	buffer_load_dword v10, off, s[44:47], 0 offset:688 ; 4-byte Folded Reload
	buffer_load_dword v11, off, s[44:47], 0 offset:692 ; 4-byte Folded Reload
	;; [unrolled: 6-line block ×4, first 2 shown]
	s_waitcnt vmcnt(0)
	v_mul_f64 v[50:51], v[0:1], s[0:1]
	buffer_load_dword v0, off, s[44:47], 0 offset:832 ; 4-byte Folded Reload
	buffer_load_dword v1, off, s[44:47], 0 offset:836 ; 4-byte Folded Reload
	;; [unrolled: 1-line block ×4, first 2 shown]
	s_waitcnt vmcnt(2)
	v_fma_f64 v[12:13], v[0:1], s[2:3], -v[50:51]
	buffer_load_dword v50, off, s[44:47], 0 offset:952 ; 4-byte Folded Reload
	buffer_load_dword v51, off, s[44:47], 0 offset:956 ; 4-byte Folded Reload
	;; [unrolled: 1-line block ×4, first 2 shown]
	s_waitcnt vmcnt(4)
	v_mul_f64 v[48:49], v[10:11], v[48:49]
	v_mul_f64 v[48:49], v[2:3], v[48:49]
	s_waitcnt vmcnt(2)
	v_fma_f64 v[48:49], v[50:51], v[52:53], v[48:49]
	s_waitcnt vmcnt(0)
	v_mul_f64 v[52:53], v[0:1], s[0:1]
	buffer_load_dword v0, off, s[44:47], 0 offset:856 ; 4-byte Folded Reload
	buffer_load_dword v1, off, s[44:47], 0 offset:860 ; 4-byte Folded Reload
	s_waitcnt vmcnt(0)
	v_fma_f64 v[55:56], v[0:1], s[2:3], -v[52:53]
	buffer_load_dword v0, off, s[44:47], 0 offset:712 ; 4-byte Folded Reload
	buffer_load_dword v1, off, s[44:47], 0 offset:716 ; 4-byte Folded Reload
	buffer_load_dword v22, off, s[44:47], 0 offset:248 ; 4-byte Folded Reload
	buffer_load_dword v23, off, s[44:47], 0 offset:252 ; 4-byte Folded Reload
	s_waitcnt vmcnt(0)
	v_add_f64 v[52:53], v[0:1], v[22:23]
	buffer_load_dword v0, off, s[44:47], 0 offset:720 ; 4-byte Folded Reload
	buffer_load_dword v1, off, s[44:47], 0 offset:724 ; 4-byte Folded Reload
	;; [unrolled: 1-line block ×4, first 2 shown]
	v_add_f64 v[12:13], v[52:53], v[12:13]
	s_waitcnt vmcnt(0)
	v_add_f64 v[0:1], v[0:1], v[22:23]
	buffer_load_dword v22, off, s[44:47], 0 offset:936 ; 4-byte Folded Reload
	buffer_load_dword v23, off, s[44:47], 0 offset:940 ; 4-byte Folded Reload
	;; [unrolled: 1-line block ×4, first 2 shown]
	s_nop 0
	buffer_store_dword v12, off, s[44:47], 0 offset:184 ; 4-byte Folded Spill
	s_nop 0
	buffer_store_dword v13, off, s[44:47], 0 offset:188 ; 4-byte Folded Spill
	v_add_f64 v[0:1], v[0:1], v[55:56]
	buffer_store_dword v0, off, s[44:47], 0 offset:248 ; 4-byte Folded Spill
	s_nop 0
	buffer_store_dword v1, off, s[44:47], 0 offset:252 ; 4-byte Folded Spill
	buffer_load_dword v0, off, s[44:47], 0 offset:800 ; 4-byte Folded Reload
	s_nop 0
	buffer_load_dword v1, off, s[44:47], 0 offset:804 ; 4-byte Folded Reload
	buffer_load_dword v12, off, s[44:47], 0 offset:752 ; 4-byte Folded Reload
	;; [unrolled: 1-line block ×3, first 2 shown]
	s_waitcnt vmcnt(8)
	v_fma_f64 v[48:49], v[22:23], v[40:41], v[48:49]
	s_waitcnt vmcnt(0)
	v_add_f64 v[12:13], v[12:13], -v[0:1]
	buffer_load_dword v0, off, s[44:47], 0 offset:528 ; 4-byte Folded Reload
	buffer_load_dword v1, off, s[44:47], 0 offset:532 ; 4-byte Folded Reload
	v_mul_f64 v[12:13], v[12:13], s[0:1]
	s_waitcnt vmcnt(0)
	v_add_f64 v[48:49], v[48:49], -v[0:1]
	buffer_load_dword v0, off, s[44:47], 0 offset:560 ; 4-byte Folded Reload
	buffer_load_dword v1, off, s[44:47], 0 offset:564 ; 4-byte Folded Reload
	;; [unrolled: 1-line block ×4, first 2 shown]
	v_fma_f64 v[12:13], v[48:49], s[2:3], -v[12:13]
	s_waitcnt vmcnt(0)
	v_add_f64 v[52:53], v[40:41], -v[0:1]
	buffer_load_dword v40, off, s[44:47], 0 offset:464 ; 4-byte Folded Reload
	buffer_load_dword v41, off, s[44:47], 0 offset:468 ; 4-byte Folded Reload
	buffer_load_dword v0, off, s[44:47], 0 offset:32 ; 4-byte Folded Reload
	buffer_load_dword v1, off, s[44:47], 0 offset:36 ; 4-byte Folded Reload
	s_waitcnt vmcnt(2)
	v_mul_f64 v[55:56], v[10:11], v[40:41]
	v_mul_f64 v[55:56], v[8:9], v[55:56]
	s_waitcnt vmcnt(0)
	v_mul_f64 v[55:56], v[0:1], v[55:56]
	buffer_load_dword v0, off, s[44:47], 0 offset:216 ; 4-byte Folded Reload
	buffer_load_dword v1, off, s[44:47], 0 offset:220 ; 4-byte Folded Reload
	s_waitcnt vmcnt(0)
	v_fma_f64 v[55:56], v[50:51], v[0:1], v[55:56]
	buffer_load_dword v0, off, s[44:47], 0 offset:232 ; 4-byte Folded Reload
	buffer_load_dword v1, off, s[44:47], 0 offset:236 ; 4-byte Folded Reload
	s_nop 0
	buffer_store_dword v12, off, s[44:47], 0 offset:216 ; 4-byte Folded Spill
	s_nop 0
	buffer_store_dword v13, off, s[44:47], 0 offset:220 ; 4-byte Folded Spill
	buffer_load_dword v12, off, s[44:47], 0 offset:544 ; 4-byte Folded Reload
	s_nop 0
	buffer_load_dword v13, off, s[44:47], 0 offset:548 ; 4-byte Folded Reload
	s_waitcnt vmcnt(4)
	v_mul_f64 v[10:11], v[50:51], v[0:1]
	v_mul_f64 v[0:1], v[22:23], v[40:41]
	s_waitcnt vmcnt(0)
	v_add_f64 v[12:13], v[55:56], -v[12:13]
	buffer_load_dword v22, off, s[44:47], 0 offset:256 ; 4-byte Folded Reload
	buffer_load_dword v23, off, s[44:47], 0 offset:260 ; 4-byte Folded Reload
	;; [unrolled: 1-line block ×4, first 2 shown]
	v_fma_f64 v[0:1], v[8:9], v[0:1], v[10:11]
	v_mul_f64 v[8:9], v[52:53], s[0:1]
	v_fma_f64 v[8:9], v[12:13], s[2:3], -v[8:9]
	buffer_store_dword v8, off, s[44:47], 0 offset:232 ; 4-byte Folded Spill
	s_nop 0
	buffer_store_dword v9, off, s[44:47], 0 offset:236 ; 4-byte Folded Spill
	buffer_load_dword v8, off, s[44:47], 0 offset:264 ; 4-byte Folded Reload
	s_nop 0
	buffer_load_dword v9, off, s[44:47], 0 offset:268 ; 4-byte Folded Reload
	s_waitcnt vmcnt(4)
	v_add_f64 v[55:56], v[40:41], -v[22:23]
	v_mul_f64 v[10:11], v[55:56], s[0:1]
	v_mov_b32_e32 v56, v17
	v_mov_b32_e32 v55, v16
	s_waitcnt vmcnt(0)
	v_add_f64 v[0:1], v[0:1], -v[8:9]
	v_fma_f64 v[0:1], v[0:1], s[2:3], -v[10:11]
	buffer_store_dword v0, off, s[44:47], 0 offset:240 ; 4-byte Folded Spill
	s_nop 0
	buffer_store_dword v1, off, s[44:47], 0 offset:244 ; 4-byte Folded Spill
	buffer_load_dword v0, off, s[44:47], 0 offset:224 ; 4-byte Folded Reload
	s_nop 0
	buffer_load_dword v1, off, s[44:47], 0 offset:228 ; 4-byte Folded Reload
	buffer_load_dword v8, off, s[44:47], 0 offset:48 ; 4-byte Folded Reload
	;; [unrolled: 1-line block ×3, first 2 shown]
	v_mul_f64 v[10:11], v[46:47], v[62:63]
	v_mul_f64 v[10:11], v[24:25], v[10:11]
	s_waitcnt vmcnt(2)
	v_mul_f64 v[0:1], v[0:1], s[0:1]
	s_waitcnt vmcnt(0)
	v_fma_f64 v[0:1], v[8:9], s[2:3], -v[0:1]
	buffer_store_dword v0, off, s[44:47], 0 offset:48 ; 4-byte Folded Spill
	s_nop 0
	buffer_store_dword v1, off, s[44:47], 0 offset:52 ; 4-byte Folded Spill
	buffer_load_dword v0, off, s[44:47], 0 offset:192 ; 4-byte Folded Reload
	s_nop 0
	buffer_load_dword v1, off, s[44:47], 0 offset:196 ; 4-byte Folded Reload
	buffer_load_dword v8, off, s[44:47], 0 offset:200 ; 4-byte Folded Reload
	;; [unrolled: 1-line block ×3, first 2 shown]
	s_waitcnt vmcnt(2)
	v_mul_f64 v[0:1], v[0:1], s[0:1]
	s_waitcnt vmcnt(0)
	v_fma_f64 v[0:1], v[8:9], s[2:3], -v[0:1]
	buffer_store_dword v0, off, s[44:47], 0 offset:192 ; 4-byte Folded Spill
	s_nop 0
	buffer_store_dword v1, off, s[44:47], 0 offset:196 ; 4-byte Folded Spill
	buffer_load_dword v0, off, s[44:47], 0 offset:624 ; 4-byte Folded Reload
	s_nop 0
	buffer_load_dword v1, off, s[44:47], 0 offset:628 ; 4-byte Folded Reload
	buffer_load_dword v22, off, s[44:47], 0 offset:328 ; 4-byte Folded Reload
	;; [unrolled: 1-line block ×13, first 2 shown]
	s_waitcnt vmcnt(10)
	v_mul_f64 v[12:13], v[0:1], v[22:23]
	v_mov_b32_e32 v0, v44
	v_mov_b32_e32 v1, v45
	s_waitcnt vmcnt(0)
	v_mul_f64 v[62:63], v[40:41], v[16:17]
	v_mul_f64 v[12:13], v[42:43], v[12:13]
	;; [unrolled: 1-line block ×6, first 2 shown]
	v_fma_f64 v[44:45], v[32:33], v[62:63], v[12:13]
	buffer_load_dword v12, off, s[44:47], 0 offset:152 ; 4-byte Folded Reload
	buffer_load_dword v13, off, s[44:47], 0 offset:156 ; 4-byte Folded Reload
	s_nop 0
	global_load_dwordx2 v[38:39], v[38:39], off
	s_nop 0
	global_load_dwordx2 v[36:37], v[36:37], off
	s_nop 0
	global_load_dwordx2 v[34:35], v[34:35], off
	s_nop 0
	global_load_dwordx2 v[18:19], v[18:19], off
	s_waitcnt vmcnt(4)
	v_mul_f64 v[46:47], v[12:13], v[22:23]
	buffer_load_dword v22, off, s[44:47], 0 offset:616 ; 4-byte Folded Reload
	buffer_load_dword v23, off, s[44:47], 0 offset:620 ; 4-byte Folded Reload
	;; [unrolled: 1-line block ×4, first 2 shown]
	v_mul_f64 v[62:63], v[12:13], v[16:17]
	buffer_load_dword v24, off, s[44:47], 0 offset:136 ; 4-byte Folded Reload
	buffer_load_dword v25, off, s[44:47], 0 offset:140 ; 4-byte Folded Reload
	v_mul_f64 v[16:17], v[28:29], v[10:11]
	v_mov_b32_e32 v10, v20
	v_mov_b32_e32 v11, v21
	v_mul_f64 v[46:47], v[42:43], v[46:47]
	v_mul_f64 v[62:63], v[42:43], v[62:63]
	;; [unrolled: 1-line block ×5, first 2 shown]
	v_fma_f64 v[59:60], v[55:56], v[62:63], v[32:33]
	v_mov_b32_e32 v33, v15
	v_mov_b32_e32 v32, v14
	s_waitcnt vmcnt(4)
	v_mul_f64 v[62:63], v[22:23], v[38:39]
	buffer_load_dword v22, off, s[44:47], 0 offset:112 ; 4-byte Folded Reload
	buffer_load_dword v23, off, s[44:47], 0 offset:116 ; 4-byte Folded Reload
	s_waitcnt vmcnt(2)
	v_mul_f64 v[53:54], v[24:25], v[36:37]
	v_mul_f64 v[62:63], v[8:9], v[62:63]
	;; [unrolled: 1-line block ×6, first 2 shown]
	v_fma_f64 v[57:58], v[30:31], v[53:54], v[62:63]
	s_waitcnt vmcnt(0)
	v_mul_f64 v[38:39], v[22:23], v[38:39]
	v_mul_f64 v[36:37], v[22:23], v[36:37]
	;; [unrolled: 1-line block ×4, first 2 shown]
	v_mov_b32_e32 v39, v9
	v_mov_b32_e32 v38, v8
	v_mul_f64 v[30:31], v[30:31], v[52:53]
	v_mul_f64 v[30:31], v[4:5], v[30:31]
	;; [unrolled: 1-line block ×3, first 2 shown]
	v_fma_f64 v[8:9], v[32:33], v[36:37], v[30:31]
	buffer_store_dword v8, off, s[44:47], 0 offset:168 ; 4-byte Folded Spill
	s_nop 0
	buffer_store_dword v9, off, s[44:47], 0 offset:172 ; 4-byte Folded Spill
	buffer_load_dword v28, off, s[44:47], 0 offset:608 ; 4-byte Folded Reload
	buffer_load_dword v29, off, s[44:47], 0 offset:612 ; 4-byte Folded Reload
	buffer_load_dword v14, off, s[44:47], 0 offset:104 ; 4-byte Folded Reload
	buffer_load_dword v15, off, s[44:47], 0 offset:108 ; 4-byte Folded Reload
	s_nop 0
	buffer_load_dword v8, off, s[44:47], 0 offset:144 ; 4-byte Folded Reload
	buffer_load_dword v9, off, s[44:47], 0 offset:148 ; 4-byte Folded Reload
	;; [unrolled: 1-line block ×4, first 2 shown]
	s_waitcnt vmcnt(6)
	v_mul_f64 v[28:29], v[28:29], v[34:35]
	s_waitcnt vmcnt(4)
	v_mov_b32_e32 v21, v15
	s_waitcnt vmcnt(2)
	v_mul_f64 v[36:37], v[8:9], v[18:19]
	s_waitcnt vmcnt(0)
	v_mul_f64 v[34:35], v[62:63], v[34:35]
	v_mul_f64 v[18:19], v[62:63], v[18:19]
	v_mov_b32_e32 v20, v14
	v_mul_f64 v[28:29], v[14:15], v[28:29]
	v_mul_f64 v[36:37], v[14:15], v[36:37]
	;; [unrolled: 1-line block ×7, first 2 shown]
	v_fma_f64 v[30:31], v[26:27], v[36:37], v[28:29]
	v_mul_f64 v[26:27], v[26:27], v[34:35]
	v_mul_f64 v[26:27], v[50:51], v[26:27]
	;; [unrolled: 1-line block ×3, first 2 shown]
	v_fma_f64 v[14:15], v[10:11], v[18:19], v[26:27]
	buffer_store_dword v14, off, s[44:47], 0 offset:176 ; 4-byte Folded Spill
	s_nop 0
	buffer_store_dword v15, off, s[44:47], 0 offset:180 ; 4-byte Folded Spill
	buffer_load_dword v14, off, s[44:47], 0 offset:304 ; 4-byte Folded Reload
	s_nop 0
	buffer_load_dword v15, off, s[44:47], 0 offset:308 ; 4-byte Folded Reload
	v_mov_b32_e32 v27, v1
	v_mov_b32_e32 v26, v0
	s_waitcnt vmcnt(0)
	v_fma_f64 v[28:29], v[0:1], v[16:17], v[14:15]
	buffer_load_dword v0, off, s[44:47], 0 offset:312 ; 4-byte Folded Reload
	buffer_load_dword v1, off, s[44:47], 0 offset:316 ; 4-byte Folded Reload
	s_waitcnt vmcnt(0)
	v_mul_f64 v[18:19], v[40:41], v[0:1]
	v_mul_f64 v[36:37], v[12:13], v[0:1]
	buffer_load_dword v0, off, s[44:47], 0 offset:16 ; 4-byte Folded Reload
	buffer_load_dword v1, off, s[44:47], 0 offset:20 ; 4-byte Folded Reload
	v_mul_f64 v[18:19], v[42:43], v[18:19]
	s_waitcnt vmcnt(0)
	v_mul_f64 v[18:19], v[0:1], v[18:19]
	v_mul_f64 v[16:17], v[0:1], v[46:47]
	buffer_load_dword v0, off, s[44:47], 0 offset:296 ; 4-byte Folded Reload
	buffer_load_dword v1, off, s[44:47], 0 offset:300 ; 4-byte Folded Reload
	v_fma_f64 v[12:13], v[26:27], v[18:19], v[44:45]
	v_mul_f64 v[18:19], v[42:43], v[36:37]
	v_mul_f64 v[14:15], v[55:56], v[18:19]
	v_fma_f64 v[14:15], v[48:49], v[16:17], v[14:15]
	s_waitcnt vmcnt(0)
	v_mul_f64 v[36:37], v[24:25], v[0:1]
	v_mul_f64 v[40:41], v[22:23], v[0:1]
	buffer_load_dword v0, off, s[44:47], 0 offset:288 ; 4-byte Folded Reload
	buffer_load_dword v1, off, s[44:47], 0 offset:292 ; 4-byte Folded Reload
	v_mul_f64 v[18:19], v[38:39], v[36:37]
	v_mul_f64 v[36:37], v[38:39], v[40:41]
	s_waitcnt vmcnt(0)
	v_mul_f64 v[44:45], v[8:9], v[0:1]
	v_mul_f64 v[42:43], v[62:63], v[0:1]
	buffer_load_dword v0, off, s[44:47], 0 offset:8 ; 4-byte Folded Reload
	buffer_load_dword v1, off, s[44:47], 0 offset:12 ; 4-byte Folded Reload
	v_mul_f64 v[40:41], v[20:21], v[44:45]
	v_mul_f64 v[42:43], v[20:21], v[42:43]
	;; [unrolled: 1-line block ×4, first 2 shown]
	v_add_f64 v[10:11], v[28:29], -v[12:13]
	v_mul_f64 v[10:11], v[10:11], s[0:1]
	s_waitcnt vmcnt(0)
	v_mul_f64 v[16:17], v[0:1], v[18:19]
	v_mul_f64 v[18:19], v[0:1], v[52:53]
	buffer_load_dword v0, off, s[44:47], 0  ; 4-byte Folded Reload
	buffer_load_dword v1, off, s[44:47], 0 offset:4 ; 4-byte Folded Reload
	v_fma_f64 v[12:13], v[26:27], v[16:17], v[57:58]
	v_fma_f64 v[4:5], v[4:5], v[18:19], v[20:21]
	s_waitcnt vmcnt(0)
	v_mul_f64 v[24:25], v[0:1], v[40:41]
	v_mul_f64 v[34:35], v[0:1], v[34:35]
	buffer_load_dword v0, off, s[44:47], 0 offset:632 ; 4-byte Folded Reload
	buffer_load_dword v1, off, s[44:47], 0 offset:636 ; 4-byte Folded Reload
	;; [unrolled: 1-line block ×4, first 2 shown]
	v_fma_f64 v[16:17], v[26:27], v[24:25], v[30:31]
	v_fma_f64 v[18:19], v[50:51], v[34:35], v[22:23]
	v_add_f64 v[12:13], v[12:13], -v[16:17]
	v_add_f64 v[4:5], v[4:5], -v[18:19]
	v_fma_f64 v[10:11], v[12:13], s[2:3], -v[10:11]
	s_waitcnt vmcnt(0)
	v_add_f64 v[36:37], v[0:1], v[8:9]
	buffer_load_dword v0, off, s[44:47], 0 offset:272 ; 4-byte Folded Reload
	buffer_load_dword v1, off, s[44:47], 0 offset:276 ; 4-byte Folded Reload
	s_waitcnt vmcnt(0)
	v_add_f64 v[32:33], v[0:1], -v[59:60]
	buffer_load_dword v0, off, s[44:47], 0 offset:280 ; 4-byte Folded Reload
	buffer_load_dword v1, off, s[44:47], 0 offset:284 ; 4-byte Folded Reload
	v_mul_f64 v[22:23], v[32:33], s[0:1]
	s_waitcnt vmcnt(0)
	v_add_f64 v[14:15], v[0:1], -v[14:15]
	buffer_load_dword v0, off, s[44:47], 0 offset:184 ; 4-byte Folded Reload
	buffer_load_dword v1, off, s[44:47], 0 offset:188 ; 4-byte Folded Reload
	;; [unrolled: 1-line block ×4, first 2 shown]
	v_mul_f64 v[14:15], v[14:15], s[0:1]
	v_fma_f64 v[12:13], v[4:5], s[2:3], -v[14:15]
	s_waitcnt vmcnt(0)
	v_add_f64 v[20:21], v[8:9], v[0:1]
	buffer_load_dword v0, off, s[44:47], 0 offset:248 ; 4-byte Folded Reload
	buffer_load_dword v1, off, s[44:47], 0 offset:252 ; 4-byte Folded Reload
	;; [unrolled: 1-line block ×4, first 2 shown]
	s_waitcnt vmcnt(0)
	v_add_f64 v[0:1], v[8:9], v[0:1]
	buffer_load_dword v8, off, s[44:47], 0 offset:168 ; 4-byte Folded Reload
	buffer_load_dword v9, off, s[44:47], 0 offset:172 ; 4-byte Folded Reload
	;; [unrolled: 1-line block ×4, first 2 shown]
	s_waitcnt vmcnt(0)
	v_add_f64 v[24:25], v[8:9], -v[24:25]
	buffer_load_dword v8, off, s[44:47], 0 offset:32 ; 4-byte Folded Reload
	buffer_load_dword v9, off, s[44:47], 0 offset:36 ; 4-byte Folded Reload
	;; [unrolled: 1-line block ×6, first 2 shown]
	s_waitcnt vmcnt(2)
	v_fma_f64 v[16:17], v[8:9], v[16:17], v[20:21]
	s_waitcnt vmcnt(0)
	v_add_f64 v[0:1], v[0:1], v[18:19]
	buffer_load_dword v18, off, s[44:47], 0 offset:240 ; 4-byte Folded Reload
	buffer_load_dword v19, off, s[44:47], 0 offset:244 ; 4-byte Folded Reload
	s_waitcnt vmcnt(0)
	v_fma_f64 v[18:19], v[8:9], v[18:19], v[36:37]
	v_fma_f64 v[8:9], v[24:25], s[2:3], -v[22:23]
	v_add_f64 v[24:25], v[0:1], v[10:11]
	buffer_load_dword v10, off, s[44:47], 0 offset:868 ; 4-byte Folded Reload
	v_fma_f64 v[22:23], v[26:27], v[12:13], v[18:19]
	v_add_f64 v[47:48], v[16:17], v[8:9]
	s_waitcnt vmcnt(0)
	v_subrev_u32_e32 v38, s30, v10
	buffer_load_dword v10, off, s[44:47], 0 offset:872 ; 4-byte Folded Reload
	s_waitcnt vmcnt(0)
	v_subrev_u32_e32 v39, s30, v10
	buffer_load_dword v10, off, s[44:47], 0 offset:876 ; 4-byte Folded Reload
	;; [unrolled: 3-line block ×3, first 2 shown]
	buffer_load_dword v0, off, s[44:47], 0 offset:24 ; 4-byte Folded Reload
	buffer_load_dword v1, off, s[44:47], 0 offset:28 ; 4-byte Folded Reload
	s_waitcnt vmcnt(0)
	v_mov_b32_e32 v1, v0
	buffer_load_dword v58, off, s[44:47], 0 offset:880 ; 4-byte Folded Reload
	buffer_load_dword v59, off, s[44:47], 0 offset:884 ; 4-byte Folded Reload
	;; [unrolled: 1-line block ×12, first 2 shown]
	v_subrev_u32_e32 v41, s30, v10
.LBB0_10:                               ; =>This Inner Loop Header: Depth=1
	v_add_u32_e32 v10, s16, v1
	v_ashrrev_i32_e32 v11, 31, v10
	v_lshlrev_b64 v[10:11], 3, v[10:11]
	v_mov_b32_e32 v12, s23
	v_add_co_u32_e32 v10, vcc, s22, v10
	buffer_store_dword v47, off, s[44:47], 0 offset:8 ; 4-byte Folded Spill
	s_nop 0
	buffer_store_dword v48, off, s[44:47], 0 offset:12 ; 4-byte Folded Spill
	buffer_store_dword v22, off, s[44:47], 0 ; 4-byte Folded Spill
	s_nop 0
	buffer_store_dword v23, off, s[44:47], 0 offset:4 ; 4-byte Folded Spill
	v_addc_co_u32_e32 v11, vcc, v12, v11, vcc
	global_load_dwordx2 v[4:5], v[10:11], off
	v_add_u32_e32 v12, s6, v40
	v_ashrrev_i32_e32 v13, 31, v12
	v_lshlrev_b64 v[14:15], 3, v[12:13]
	v_mov_b32_e32 v13, s11
	v_add_co_u32_e32 v12, vcc, s10, v14
	v_addc_co_u32_e32 v13, vcc, v13, v15, vcc
	v_mov_b32_e32 v28, s15
	v_mov_b32_e32 v10, v24
	;; [unrolled: 1-line block ×4, first 2 shown]
	s_waitcnt vmcnt(10)
	v_mov_b32_e32 v53, v51
	s_add_i32 s16, s16, 6
	v_add_u32_e32 v40, s7, v40
	s_cmp_eq_u32 s16, 47
	s_waitcnt vmcnt(0)
	buffer_store_dword v4, off, s[44:47], 0 offset:16 ; 4-byte Folded Spill
	s_nop 0
	buffer_store_dword v5, off, s[44:47], 0 offset:20 ; 4-byte Folded Spill
	global_load_dwordx2 v[26:27], v[12:13], off
	v_add_co_u32_e32 v12, vcc, s12, v14
	v_mov_b32_e32 v13, s13
	v_addc_co_u32_e32 v13, vcc, v13, v15, vcc
	global_load_dwordx2 v[16:17], v[12:13], off
	v_add_u32_e32 v12, s6, v41
	v_ashrrev_i32_e32 v13, 31, v12
	v_lshlrev_b64 v[22:23], 3, v[12:13]
	v_add_u32_e32 v41, s7, v41
	v_add_co_u32_e32 v12, vcc, s14, v22
	v_addc_co_u32_e32 v13, vcc, v28, v23, vcc
	global_load_dwordx2 v[30:31], v[12:13], off
	v_add_co_u32_e32 v12, vcc, s14, v14
	v_addc_co_u32_e32 v13, vcc, v28, v15, vcc
	global_load_dwordx2 v[12:13], v[12:13], off
	v_add_co_u32_e32 v14, vcc, s8, v14
	v_addc_co_u32_e32 v15, vcc, v42, v15, vcc
	s_waitcnt vmcnt(2)
	v_fma_f64 v[24:25], v[26:27], 2.0, v[16:17]
	s_waitcnt vmcnt(1)
	v_mul_f64 v[18:19], v[24:25], v[30:31]
	s_waitcnt vmcnt(0)
	v_mul_f64 v[36:37], v[18:19], v[12:13]
	global_load_dwordx4 v[18:21], v[14:15], off offset:8
	global_load_dwordx4 v[32:35], v[14:15], off offset:-16
	s_waitcnt vmcnt(0)
	v_add_f64 v[14:15], v[20:21], -v[32:33]
	v_add_f64 v[18:19], v[18:19], -v[34:35]
	v_mul_f64 v[14:15], v[14:15], s[0:1]
	v_fma_f64 v[18:19], v[18:19], s[2:3], -v[14:15]
	v_mul_f64 v[14:15], v[36:37], v[18:19]
	v_mul_f64 v[47:48], v[6:7], v[14:15]
	v_add_u32_e32 v14, s6, v38
	v_ashrrev_i32_e32 v15, 31, v14
	v_lshlrev_b64 v[20:21], 3, v[14:15]
	v_add_u32_e32 v38, s7, v38
	v_add_co_u32_e32 v14, vcc, s14, v20
	v_addc_co_u32_e32 v15, vcc, v28, v21, vcc
	v_add_co_u32_e32 v22, vcc, s8, v22
	v_addc_co_u32_e32 v23, vcc, v42, v23, vcc
	global_load_dwordx2 v[32:33], v[14:15], off
	global_load_dwordx4 v[34:37], v[22:23], off offset:8
	global_load_dwordx4 v[43:46], v[22:23], off offset:-16
	buffer_load_dword v8, off, s[44:47], 0 offset:32 ; 4-byte Folded Reload
	buffer_load_dword v9, off, s[44:47], 0 offset:36 ; 4-byte Folded Reload
	s_waitcnt vmcnt(4)
	v_mul_f64 v[14:15], v[26:27], v[32:33]
	s_waitcnt vmcnt(2)
	v_add_f64 v[22:23], v[36:37], -v[43:44]
	v_add_f64 v[34:35], v[34:35], -v[45:46]
	v_mul_f64 v[24:25], v[24:25], v[32:33]
	v_mul_f64 v[14:15], v[12:13], v[14:15]
	;; [unrolled: 1-line block ×4, first 2 shown]
	v_fma_f64 v[36:37], v[34:35], s[2:3], -v[22:23]
	v_mul_f64 v[22:23], v[14:15], v[36:37]
	s_waitcnt vmcnt(0)
	v_fma_f64 v[34:35], v[8:9], v[47:48], v[22:23]
	v_add_u32_e32 v22, s6, v39
	v_ashrrev_i32_e32 v23, 31, v22
	v_lshlrev_b64 v[22:23], 3, v[22:23]
	v_add_u32_e32 v39, s7, v39
	v_add_co_u32_e32 v22, vcc, s14, v22
	v_addc_co_u32_e32 v23, vcc, v28, v23, vcc
	v_add_co_u32_e32 v20, vcc, s8, v20
	v_addc_co_u32_e32 v21, vcc, v42, v21, vcc
	global_load_dwordx2 v[22:23], v[22:23], off
	s_nop 0
	global_load_dwordx4 v[43:46], v[20:21], off offset:8
	global_load_dwordx4 v[47:50], v[20:21], off offset:-16
	s_waitcnt vmcnt(2)
	v_mul_f64 v[28:29], v[26:27], v[22:23]
	s_waitcnt vmcnt(0)
	v_add_f64 v[20:21], v[45:46], -v[47:48]
	v_add_f64 v[43:44], v[43:44], -v[49:50]
	v_add_u32_e32 v45, s6, v56
	v_ashrrev_i32_e32 v46, 31, v45
	v_lshlrev_b64 v[45:46], 3, v[45:46]
	v_add_u32_e32 v47, s6, v51
	v_ashrrev_i32_e32 v48, 31, v47
	v_mul_f64 v[28:29], v[12:13], v[28:29]
	v_mul_f64 v[20:21], v[20:21], s[0:1]
	v_lshlrev_b64 v[47:48], 3, v[47:48]
	v_add_u32_e32 v49, s6, v57
	v_ashrrev_i32_e32 v50, 31, v49
	v_lshlrev_b64 v[49:50], 3, v[49:50]
	v_add_u32_e32 v51, s6, v54
	v_ashrrev_i32_e32 v52, 31, v51
	v_lshlrev_b64 v[51:52], 3, v[51:52]
	v_fma_f64 v[20:21], v[43:44], s[2:3], -v[20:21]
	v_mul_f64 v[26:27], v[26:27], v[30:31]
	v_add_u32_e32 v54, s7, v54
	v_add_u32_e32 v56, s7, v56
	;; [unrolled: 1-line block ×3, first 2 shown]
	v_mul_f64 v[43:44], v[28:29], v[20:21]
	v_mul_f64 v[26:27], v[26:27], v[12:13]
	v_fma_f64 v[34:35], v[8:9], v[43:44], v[34:35]
	v_add_u32_e32 v43, s6, v61
	v_ashrrev_i32_e32 v44, 31, v43
	v_lshlrev_b64 v[43:44], 3, v[43:44]
	v_add_u32_e32 v61, s7, v61
	v_add_co_u32_e32 v43, vcc, s8, v43
	v_addc_co_u32_e32 v44, vcc, v42, v44, vcc
	v_add_co_u32_e32 v45, vcc, s8, v45
	v_addc_co_u32_e32 v46, vcc, v42, v46, vcc
	global_load_dwordx2 v[43:44], v[43:44], off
	s_nop 0
	global_load_dwordx2 v[45:46], v[45:46], off
	s_waitcnt vmcnt(0)
	v_add_f64 v[43:44], v[43:44], -v[45:46]
	v_add_u32_e32 v45, s6, v58
	v_ashrrev_i32_e32 v46, 31, v45
	v_lshlrev_b64 v[45:46], 3, v[45:46]
	v_add_u32_e32 v58, s7, v58
	v_add_co_u32_e32 v45, vcc, s8, v45
	v_addc_co_u32_e32 v46, vcc, v42, v46, vcc
	v_add_co_u32_e32 v47, vcc, s8, v47
	v_addc_co_u32_e32 v48, vcc, v42, v48, vcc
	global_load_dwordx2 v[45:46], v[45:46], off
	v_mul_f64 v[43:44], v[43:44], s[0:1]
	global_load_dwordx2 v[47:48], v[47:48], off
	s_nop 0
	buffer_load_dword v4, off, s[44:47], 0 offset:40 ; 4-byte Folded Reload
	buffer_load_dword v5, off, s[44:47], 0 offset:44 ; 4-byte Folded Reload
	s_waitcnt vmcnt(2)
	v_add_f64 v[45:46], v[45:46], -v[47:48]
	v_fma_f64 v[43:44], v[45:46], s[2:3], -v[43:44]
	v_mul_f64 v[45:46], v[14:15], v[43:44]
	v_mul_f64 v[45:46], v[2:3], v[45:46]
	s_waitcnt vmcnt(0)
	v_fma_f64 v[45:46], v[4:5], v[45:46], v[34:35]
	v_mul_f64 v[34:35], v[16:17], v[30:31]
	v_mul_f64 v[30:31], v[26:27], v[36:37]
	v_add_u32_e32 v36, s6, v55
	v_ashrrev_i32_e32 v37, 31, v36
	v_lshlrev_b64 v[36:37], 3, v[36:37]
	v_add_u32_e32 v55, s7, v55
	v_mul_f64 v[47:48], v[34:35], v[12:13]
	v_add_u32_e32 v34, s6, v62
	v_ashrrev_i32_e32 v35, 31, v34
	v_lshlrev_b64 v[34:35], 3, v[34:35]
	v_mul_f64 v[30:31], v[6:7], v[30:31]
	v_add_co_u32_e32 v34, vcc, s8, v34
	v_addc_co_u32_e32 v35, vcc, v42, v35, vcc
	v_add_co_u32_e32 v49, vcc, s8, v49
	v_addc_co_u32_e32 v50, vcc, v42, v50, vcc
	global_load_dwordx2 v[34:35], v[34:35], off
	v_mul_f64 v[30:31], v[8:9], v[30:31]
	global_load_dwordx2 v[49:50], v[49:50], off
	v_add_u32_e32 v62, s7, v62
	s_waitcnt vmcnt(0)
	v_add_f64 v[34:35], v[34:35], -v[49:50]
	v_add_u32_e32 v49, s6, v59
	v_ashrrev_i32_e32 v50, 31, v49
	v_lshlrev_b64 v[49:50], 3, v[49:50]
	v_add_u32_e32 v59, s7, v59
	v_add_co_u32_e32 v49, vcc, s8, v49
	v_addc_co_u32_e32 v50, vcc, v42, v50, vcc
	v_add_co_u32_e32 v51, vcc, s8, v51
	v_addc_co_u32_e32 v52, vcc, v42, v52, vcc
	global_load_dwordx2 v[49:50], v[49:50], off
	v_mul_f64 v[34:35], v[34:35], s[0:1]
	global_load_dwordx2 v[51:52], v[51:52], off
	s_waitcnt vmcnt(0)
	v_add_f64 v[49:50], v[49:50], -v[51:52]
	v_mov_b32_e32 v51, v53
	v_add_u32_e32 v51, s7, v51
	v_fma_f64 v[34:35], v[49:50], s[2:3], -v[34:35]
	v_fma_f64 v[45:46], v[47:48], v[34:35], v[45:46]
	buffer_load_dword v47, off, s[44:47], 0 offset:8 ; 4-byte Folded Reload
	buffer_load_dword v48, off, s[44:47], 0 offset:12 ; 4-byte Folded Reload
	;; [unrolled: 1-line block ×4, first 2 shown]
	v_mul_f64 v[24:25], v[24:25], v[34:35]
	v_mul_f64 v[24:25], v[2:3], v[24:25]
	s_waitcnt vmcnt(0)
	v_fma_f64 v[47:48], v[49:50], v[45:46], v[47:48]
	v_mul_f64 v[45:46], v[16:17], v[32:33]
	v_add_u32_e32 v32, s6, v0
	v_ashrrev_i32_e32 v33, 31, v32
	v_lshlrev_b64 v[32:33], 3, v[32:33]
	v_mul_f64 v[16:17], v[16:17], v[22:23]
	v_add_u32_e32 v0, s7, v0
	v_mul_f64 v[45:46], v[12:13], v[45:46]
	v_mul_f64 v[12:13], v[12:13], v[16:17]
	v_fma_f64 v[30:31], v[45:46], v[18:19], v[30:31]
	v_mul_f64 v[16:17], v[18:19], v[12:13]
	v_mul_f64 v[18:19], v[26:27], v[20:21]
	;; [unrolled: 1-line block ×3, first 2 shown]
	v_fma_f64 v[30:31], v[26:27], v[43:44], v[30:31]
	v_mul_f64 v[18:19], v[6:7], v[18:19]
	v_fma_f64 v[24:25], v[4:5], v[24:25], v[30:31]
	v_add_u32_e32 v30, s6, v63
	v_ashrrev_i32_e32 v31, 31, v30
	v_lshlrev_b64 v[30:31], 3, v[30:31]
	v_add_u32_e32 v63, s7, v63
	v_add_co_u32_e32 v30, vcc, s8, v30
	v_addc_co_u32_e32 v31, vcc, v42, v31, vcc
	v_add_co_u32_e32 v32, vcc, s8, v32
	v_addc_co_u32_e32 v33, vcc, v42, v33, vcc
	global_load_dwordx2 v[30:31], v[30:31], off
	v_mul_f64 v[18:19], v[8:9], v[18:19]
	global_load_dwordx2 v[32:33], v[32:33], off
	v_fma_f64 v[16:17], v[8:9], v[16:17], v[18:19]
	s_waitcnt vmcnt(0)
	v_add_f64 v[30:31], v[30:31], -v[32:33]
	v_add_u32_e32 v32, s6, v60
	v_ashrrev_i32_e32 v33, 31, v32
	v_lshlrev_b64 v[32:33], 3, v[32:33]
	v_add_u32_e32 v60, s7, v60
	v_add_co_u32_e32 v32, vcc, s8, v32
	v_addc_co_u32_e32 v33, vcc, v42, v33, vcc
	v_add_co_u32_e32 v36, vcc, s8, v36
	v_addc_co_u32_e32 v37, vcc, v42, v37, vcc
	global_load_dwordx2 v[32:33], v[32:33], off
	v_mul_f64 v[30:31], v[30:31], s[0:1]
	global_load_dwordx2 v[36:37], v[36:37], off
	s_nop 0
	buffer_load_dword v22, off, s[44:47], 0 ; 4-byte Folded Reload
	buffer_load_dword v23, off, s[44:47], 0 offset:4 ; 4-byte Folded Reload
	s_waitcnt vmcnt(2)
	v_add_f64 v[32:33], v[32:33], -v[36:37]
	v_fma_f64 v[30:31], v[32:33], s[2:3], -v[30:31]
	v_mul_f64 v[14:15], v[14:15], v[30:31]
	v_mul_f64 v[28:29], v[28:29], v[30:31]
	;; [unrolled: 1-line block ×3, first 2 shown]
	v_fma_f64 v[24:25], v[4:5], v[28:29], v[24:25]
	v_fma_f64 v[14:15], v[4:5], v[14:15], v[16:17]
	;; [unrolled: 1-line block ×4, first 2 shown]
	s_waitcnt vmcnt(0)
	v_fma_f64 v[22:23], v[49:50], v[12:13], v[22:23]
	s_cbranch_scc0 .LBB0_10
; %bb.11:
	buffer_load_dword v20, off, s[44:47], 0 offset:584 ; 4-byte Folded Reload
	buffer_load_dword v21, off, s[44:47], 0 offset:588 ; 4-byte Folded Reload
	;; [unrolled: 1-line block ×4, first 2 shown]
	v_mul_f64 v[2:3], v[6:7], v[2:3]
	v_mov_b32_e32 v11, s19
	s_waitcnt vmcnt(1)
	v_add_co_u32_e32 v10, vcc, s18, v12
	v_div_scale_f64 v[6:7], s[0:1], v[20:21], v[20:21], v[2:3]
	s_waitcnt vmcnt(0)
	v_addc_co_u32_e32 v11, vcc, v11, v13, vcc
	global_load_dwordx2 v[12:13], v[10:11], off
	s_load_dwordx4 s[0:3], s[4:5], 0x30
	s_waitcnt lgkmcnt(0)
	v_mul_f64 v[8:9], s[2:3], v[47:48]
	v_mul_f64 v[4:5], s[2:3], v[24:25]
	;; [unrolled: 1-line block ×3, first 2 shown]
	v_rcp_f64_e32 v[14:15], v[6:7]
	v_fma_f64 v[16:17], -v[6:7], v[14:15], 1.0
	v_fma_f64 v[14:15], v[14:15], v[16:17], v[14:15]
	v_div_scale_f64 v[16:17], vcc, v[2:3], v[20:21], v[2:3]
	v_fma_f64 v[18:19], -v[6:7], v[14:15], 1.0
	v_fma_f64 v[14:15], v[14:15], v[18:19], v[14:15]
	v_mul_f64 v[18:19], v[16:17], v[14:15]
	v_fma_f64 v[6:7], -v[6:7], v[18:19], v[16:17]
	v_div_fmas_f64 v[6:7], v[6:7], v[14:15], v[18:19]
	s_waitcnt vmcnt(0)
	v_mul_f64 v[12:13], s[0:1], v[12:13]
	v_div_fixup_f64 v[2:3], v[6:7], v[20:21], v[2:3]
	v_fma_f64 v[6:7], v[2:3], v[8:9], v[12:13]
	buffer_load_dword v12, off, s[44:47], 0 offset:80 ; 4-byte Folded Reload
	buffer_load_dword v13, off, s[44:47], 0 offset:84 ; 4-byte Folded Reload
	v_mov_b32_e32 v9, s19
	global_store_dwordx2 v[10:11], v[6:7], off
	s_waitcnt vmcnt(2)
	v_add_co_u32_e32 v8, vcc, s18, v12
	s_waitcnt vmcnt(1)
	v_addc_co_u32_e32 v9, vcc, v9, v13, vcc
	global_load_dwordx2 v[6:7], v[8:9], off
	buffer_load_dword v10, off, s[44:47], 0 offset:88 ; 4-byte Folded Reload
	buffer_load_dword v11, off, s[44:47], 0 offset:92 ; 4-byte Folded Reload
	s_waitcnt vmcnt(2)
	v_mul_f64 v[6:7], s[0:1], v[6:7]
	v_fma_f64 v[4:5], v[2:3], v[4:5], v[6:7]
	v_mov_b32_e32 v7, s19
	s_waitcnt vmcnt(1)
	v_add_co_u32_e32 v6, vcc, s18, v10
	s_waitcnt vmcnt(0)
	v_addc_co_u32_e32 v7, vcc, v7, v11, vcc
	global_store_dwordx2 v[8:9], v[4:5], off
	global_load_dwordx2 v[4:5], v[6:7], off
	s_waitcnt vmcnt(0)
	v_mul_f64 v[4:5], s[0:1], v[4:5]
	v_fma_f64 v[0:1], v[2:3], v[0:1], v[4:5]
	global_store_dwordx2 v[6:7], v[0:1], off
.LBB0_12:
	s_endpgm
	.section	.rodata,"a",@progbits
	.p2align	6, 0x0
	.amdhsa_kernel _Z7kernel1iiiiiiiiiiiiddPKdS0_S0_S0_S0_PdS0_S0_S0_S0_S0_S0_S0_
		.amdhsa_group_segment_fixed_size 0
		.amdhsa_private_segment_fixed_size 1108
		.amdhsa_kernarg_size 424
		.amdhsa_user_sgpr_count 6
		.amdhsa_user_sgpr_private_segment_buffer 1
		.amdhsa_user_sgpr_dispatch_ptr 0
		.amdhsa_user_sgpr_queue_ptr 0
		.amdhsa_user_sgpr_kernarg_segment_ptr 1
		.amdhsa_user_sgpr_dispatch_id 0
		.amdhsa_user_sgpr_flat_scratch_init 0
		.amdhsa_user_sgpr_private_segment_size 0
		.amdhsa_uses_dynamic_stack 0
		.amdhsa_system_sgpr_private_segment_wavefront_offset 1
		.amdhsa_system_sgpr_workgroup_id_x 1
		.amdhsa_system_sgpr_workgroup_id_y 1
		.amdhsa_system_sgpr_workgroup_id_z 1
		.amdhsa_system_sgpr_workgroup_info 0
		.amdhsa_system_vgpr_workitem_id 2
		.amdhsa_next_free_vgpr 64
		.amdhsa_next_free_sgpr 48
		.amdhsa_reserve_vcc 1
		.amdhsa_reserve_flat_scratch 0
		.amdhsa_float_round_mode_32 0
		.amdhsa_float_round_mode_16_64 0
		.amdhsa_float_denorm_mode_32 3
		.amdhsa_float_denorm_mode_16_64 3
		.amdhsa_dx10_clamp 1
		.amdhsa_ieee_mode 1
		.amdhsa_fp16_overflow 0
		.amdhsa_exception_fp_ieee_invalid_op 0
		.amdhsa_exception_fp_denorm_src 0
		.amdhsa_exception_fp_ieee_div_zero 0
		.amdhsa_exception_fp_ieee_overflow 0
		.amdhsa_exception_fp_ieee_underflow 0
		.amdhsa_exception_fp_ieee_inexact 0
		.amdhsa_exception_int_div_zero 0
	.end_amdhsa_kernel
	.text
.Lfunc_end0:
	.size	_Z7kernel1iiiiiiiiiiiiddPKdS0_S0_S0_S0_PdS0_S0_S0_S0_S0_S0_S0_, .Lfunc_end0-_Z7kernel1iiiiiiiiiiiiddPKdS0_S0_S0_S0_PdS0_S0_S0_S0_S0_S0_S0_
                                        ; -- End function
	.set _Z7kernel1iiiiiiiiiiiiddPKdS0_S0_S0_S0_PdS0_S0_S0_S0_S0_S0_S0_.num_vgpr, 64
	.set _Z7kernel1iiiiiiiiiiiiddPKdS0_S0_S0_S0_PdS0_S0_S0_S0_S0_S0_S0_.num_agpr, 0
	.set _Z7kernel1iiiiiiiiiiiiddPKdS0_S0_S0_S0_PdS0_S0_S0_S0_S0_S0_S0_.numbered_sgpr, 48
	.set _Z7kernel1iiiiiiiiiiiiddPKdS0_S0_S0_S0_PdS0_S0_S0_S0_S0_S0_S0_.num_named_barrier, 0
	.set _Z7kernel1iiiiiiiiiiiiddPKdS0_S0_S0_S0_PdS0_S0_S0_S0_S0_S0_S0_.private_seg_size, 1108
	.set _Z7kernel1iiiiiiiiiiiiddPKdS0_S0_S0_S0_PdS0_S0_S0_S0_S0_S0_S0_.uses_vcc, 1
	.set _Z7kernel1iiiiiiiiiiiiddPKdS0_S0_S0_S0_PdS0_S0_S0_S0_S0_S0_S0_.uses_flat_scratch, 0
	.set _Z7kernel1iiiiiiiiiiiiddPKdS0_S0_S0_S0_PdS0_S0_S0_S0_S0_S0_S0_.has_dyn_sized_stack, 0
	.set _Z7kernel1iiiiiiiiiiiiddPKdS0_S0_S0_S0_PdS0_S0_S0_S0_S0_S0_S0_.has_recursion, 0
	.set _Z7kernel1iiiiiiiiiiiiddPKdS0_S0_S0_S0_PdS0_S0_S0_S0_S0_S0_S0_.has_indirect_call, 0
	.section	.AMDGPU.csdata,"",@progbits
; Kernel info:
; codeLenInByte = 23404
; TotalNumSgprs: 52
; NumVgprs: 64
; ScratchSize: 1108
; MemoryBound: 0
; FloatMode: 240
; IeeeMode: 1
; LDSByteSize: 0 bytes/workgroup (compile time only)
; SGPRBlocks: 6
; VGPRBlocks: 15
; NumSGPRsForWavesPerEU: 52
; NumVGPRsForWavesPerEU: 64
; Occupancy: 4
; WaveLimiterHint : 0
; COMPUTE_PGM_RSRC2:SCRATCH_EN: 1
; COMPUTE_PGM_RSRC2:USER_SGPR: 6
; COMPUTE_PGM_RSRC2:TRAP_HANDLER: 0
; COMPUTE_PGM_RSRC2:TGID_X_EN: 1
; COMPUTE_PGM_RSRC2:TGID_Y_EN: 1
; COMPUTE_PGM_RSRC2:TGID_Z_EN: 1
; COMPUTE_PGM_RSRC2:TIDIG_COMP_CNT: 2
	.text
	.protected	_Z7kernel2iiiiiiiiiiiiddPKdS0_S0_S0_S0_PdS0_S0_S0_S0_S0_S0_S0_ ; -- Begin function _Z7kernel2iiiiiiiiiiiiddPKdS0_S0_S0_S0_PdS0_S0_S0_S0_S0_S0_S0_
	.globl	_Z7kernel2iiiiiiiiiiiiddPKdS0_S0_S0_S0_PdS0_S0_S0_S0_S0_S0_S0_
	.p2align	8
	.type	_Z7kernel2iiiiiiiiiiiiddPKdS0_S0_S0_S0_PdS0_S0_S0_S0_S0_S0_S0_,@function
_Z7kernel2iiiiiiiiiiiiddPKdS0_S0_S0_S0_PdS0_S0_S0_S0_S0_S0_S0_: ; @_Z7kernel2iiiiiiiiiiiiddPKdS0_S0_S0_S0_PdS0_S0_S0_S0_S0_S0_S0_
; %bb.0:
	s_mov_b64 s[38:39], s[2:3]
	s_mov_b64 s[36:37], s[0:1]
	s_load_dwordx2 s[0:1], s[4:5], 0xb4
	s_load_dwordx8 s[12:19], s[4:5], 0x0
	s_add_u32 s36, s36, s9
	s_addc_u32 s37, s37, 0
	s_waitcnt lgkmcnt(0)
	s_lshr_b32 s2, s0, 16
	s_and_b32 s0, s0, 0xffff
	s_mul_i32 s0, s6, s0
	s_add_i32 s0, s0, s12
	v_add_u32_e32 v44, s0, v0
	s_mul_i32 s0, s7, s2
	s_and_b32 s1, s1, 0xffff
	s_add_i32 s0, s0, s14
	v_add_u32_e32 v43, s0, v1
	s_mul_i32 s0, s8, s1
	s_add_i32 s0, s0, s16
	v_add_u32_e32 v38, s0, v2
	v_cmp_gt_i32_e32 vcc, s13, v44
	v_cmp_gt_i32_e64 s[0:1], s15, v43
	s_and_b64 s[0:1], vcc, s[0:1]
	v_cmp_gt_i32_e32 vcc, s17, v38
	s_and_b64 s[0:1], s[0:1], vcc
	s_and_saveexec_b64 s[2:3], s[0:1]
	s_cbranch_execz .LBB1_2
; %bb.1:
	s_load_dwordx4 s[0:3], s[4:5], 0x98
	s_load_dwordx4 s[24:27], s[4:5], 0x60
	s_load_dwordx8 s[8:15], s[4:5], 0x20
	v_subrev_u32_e32 v0, s18, v44
	v_ashrrev_i32_e32 v1, 31, v0
	v_lshlrev_b64 v[0:1], 3, v[0:1]
	s_sub_i32 s28, s19, s18
	s_waitcnt lgkmcnt(0)
	v_mov_b32_e32 v2, s1
	v_add_co_u32_e32 v16, vcc, s0, v0
	v_subrev_u32_e32 v0, s8, v43
	s_not_b32 s0, s28
	s_sub_i32 s1, s9, s8
	v_addc_co_u32_e32 v17, vcc, v2, v1, vcc
	v_ashrrev_i32_e32 v1, 31, v0
	s_add_i32 s28, s28, 1
	s_mul_i32 s0, s8, s0
	s_add_i32 s8, s1, 1
	v_lshlrev_b64 v[0:1], 3, v[0:1]
	s_mul_i32 s8, s8, s28
	s_mul_i32 s1, s8, s10
	v_mul_lo_u32 v30, v43, s28
	v_mov_b32_e32 v2, s3
	v_add_co_u32_e32 v40, vcc, s2, v0
	s_add_i32 s1, s18, s1
	v_mul_lo_u32 v32, v38, s8
	v_addc_co_u32_e32 v41, vcc, v2, v1, vcc
	s_sub_i32 s7, s0, s1
	global_load_dwordx4 v[55:58], v[40:41], off
	v_add_u32_e32 v39, s7, v44
	global_load_dwordx4 v[46:49], v[16:17], off
	v_add_u32_e32 v0, v30, v39
	buffer_store_dword v0, off, s[36:39], 0 offset:264 ; 4-byte Folded Spill
	v_add_u32_e32 v0, v0, v32
	v_ashrrev_i32_e32 v1, 31, v0
	v_lshlrev_b64 v[0:1], 3, v[0:1]
	v_mov_b32_e32 v3, s25
	v_add_co_u32_e32 v2, vcc, s24, v0
	v_addc_co_u32_e32 v3, vcc, v3, v1, vcc
	global_load_dwordx2 v[22:23], v[2:3], off
	v_add_u32_e32 v35, -2, v44
	v_add_u32_e32 v33, -1, v44
	v_add_u32_e32 v34, 1, v44
	s_load_dwordx8 s[16:23], s[4:5], 0x40
	v_add3_u32 v45, v32, v30, s7
	s_sub_i32 s4, s11, s10
	s_add_i32 s6, s4, 1
	s_mul_i32 s6, s6, s8
	s_waitcnt lgkmcnt(0)
	v_mov_b32_e32 v31, s21
	s_sub_i32 s7, s7, s6
	v_add_u32_e32 v42, s7, v44
	v_mov_b32_e32 v63, v32
	s_mov_b32 s4, 0
	s_mov_b32 s5, 0xbfe80000
	s_lshl_b32 s9, s6, 1
	s_waitcnt vmcnt(0)
	buffer_store_dword v22, off, s[36:39], 0 offset:280 ; 4-byte Folded Spill
	s_nop 0
	buffer_store_dword v23, off, s[36:39], 0 offset:284 ; 4-byte Folded Spill
	v_mul_f64 v[20:21], v[46:47], v[55:56]
	buffer_store_dword v20, off, s[36:39], 0 offset:272 ; 4-byte Folded Spill
	s_nop 0
	buffer_store_dword v21, off, s[36:39], 0 offset:276 ; 4-byte Folded Spill
	v_div_scale_f64 v[4:5], s[0:1], v[55:56], v[55:56], 1.0
	v_div_scale_f64 v[8:9], s[0:1], v[46:47], v[46:47], 1.0
	buffer_store_dword v35, off, s[36:39], 0 offset:528 ; 4-byte Folded Spill
	buffer_store_dword v33, off, s[36:39], 0 offset:508 ; 4-byte Folded Spill
	;; [unrolled: 1-line block ×3, first 2 shown]
	v_rcp_f64_e32 v[10:11], v[4:5]
	v_rcp_f64_e32 v[18:19], v[8:9]
	v_fma_f64 v[24:25], -v[8:9], v[18:19], 1.0
	v_div_scale_f64 v[2:3], s[0:1], v[22:23], v[22:23], v[20:21]
	v_div_scale_f64 v[20:21], vcc, v[20:21], v[22:23], v[20:21]
	v_rcp_f64_e32 v[6:7], v[2:3]
	v_fma_f64 v[12:13], -v[2:3], v[6:7], 1.0
	v_fma_f64 v[6:7], v[6:7], v[12:13], v[6:7]
	v_fma_f64 v[12:13], -v[4:5], v[10:11], 1.0
	v_fma_f64 v[22:23], -v[2:3], v[6:7], 1.0
	v_fma_f64 v[10:11], v[10:11], v[12:13], v[10:11]
	v_fma_f64 v[12:13], v[18:19], v[24:25], v[18:19]
	v_div_scale_f64 v[18:19], s[0:1], 1.0, v[55:56], 1.0
	v_div_scale_f64 v[24:25], s[2:3], 1.0, v[46:47], 1.0
	v_fma_f64 v[6:7], v[6:7], v[22:23], v[6:7]
	v_fma_f64 v[22:23], -v[4:5], v[10:11], 1.0
	v_fma_f64 v[28:29], -v[8:9], v[12:13], 1.0
	v_mul_f64 v[26:27], v[20:21], v[6:7]
	v_fma_f64 v[10:11], v[10:11], v[22:23], v[10:11]
	v_fma_f64 v[12:13], v[12:13], v[28:29], v[12:13]
	v_mov_b32_e32 v22, s19
	v_mov_b32_e32 v23, s21
	;; [unrolled: 1-line block ×3, first 2 shown]
	v_ashrrev_i32_e32 v28, 31, v44
	v_fma_f64 v[2:3], -v[2:3], v[26:27], v[20:21]
	v_mul_f64 v[20:21], v[18:19], v[10:11]
	v_div_fmas_f64 v[2:3], v[2:3], v[6:7], v[26:27]
	buffer_store_dword v2, off, s[36:39], 0 offset:288 ; 4-byte Folded Spill
	s_nop 0
	buffer_store_dword v3, off, s[36:39], 0 offset:292 ; 4-byte Folded Spill
	v_mul_f64 v[2:3], v[24:25], v[12:13]
	v_fma_f64 v[4:5], -v[4:5], v[20:21], v[18:19]
	s_mov_b64 vcc, s[0:1]
	v_mov_b32_e32 v26, s21
	v_mov_b32_e32 v27, s19
	;; [unrolled: 1-line block ×4, first 2 shown]
	s_ashr_i32 s1, s7, 31
	v_fma_f64 v[6:7], -v[8:9], v[2:3], v[24:25]
	v_div_fmas_f64 v[4:5], v[4:5], v[10:11], v[20:21]
	s_mov_b64 vcc, s[2:3]
	v_add_u32_e32 v8, v45, v35
	v_ashrrev_i32_e32 v9, 31, v8
	v_lshlrev_b64 v[8:9], 3, v[8:9]
	v_add_u32_e32 v10, v45, v33
	v_ashrrev_i32_e32 v11, 31, v10
	v_div_fmas_f64 v[2:3], v[6:7], v[12:13], v[2:3]
	v_add_co_u32_e32 v12, vcc, s18, v8
	v_addc_co_u32_e32 v13, vcc, v22, v9, vcc
	v_lshlrev_b64 v[10:11], 3, v[10:11]
	v_add_co_u32_e32 v8, vcc, s20, v8
	v_addc_co_u32_e32 v9, vcc, v23, v9, vcc
	v_add_co_u32_e32 v20, vcc, s18, v10
	v_addc_co_u32_e32 v21, vcc, v29, v11, vcc
	v_add_co_u32_e32 v10, vcc, s20, v10
	buffer_store_dword v4, off, s[36:39], 0 offset:144 ; 4-byte Folded Spill
	s_nop 0
	buffer_store_dword v5, off, s[36:39], 0 offset:148 ; 4-byte Folded Spill
	buffer_store_dword v2, off, s[36:39], 0 offset:592 ; 4-byte Folded Spill
	s_nop 0
	buffer_store_dword v3, off, s[36:39], 0 offset:596 ; 4-byte Folded Spill
	v_addc_co_u32_e32 v11, vcc, v26, v11, vcc
	v_add_u32_e32 v2, v45, v34
	v_add_co_u32_e32 v22, vcc, s18, v0
	v_ashrrev_i32_e32 v3, 31, v2
	v_addc_co_u32_e32 v23, vcc, v27, v1, vcc
	v_lshlrev_b64 v[2:3], 3, v[2:3]
	v_add_co_u32_e32 v24, vcc, s20, v0
	v_addc_co_u32_e32 v25, vcc, v31, v1, vcc
	v_add_co_u32_e32 v26, vcc, s18, v2
	v_addc_co_u32_e32 v27, vcc, v18, v3, vcc
	;; [unrolled: 2-line block ×3, first 2 shown]
	v_add_co_u32_e32 v1, vcc, s7, v44
	v_mov_b32_e32 v4, s1
	v_addc_co_u32_e32 v4, vcc, v28, v4, vcc
	v_ashrrev_i32_e32 v0, 31, v30
	v_add_co_u32_e32 v1, vcc, v1, v30
	v_addc_co_u32_e32 v0, vcc, v4, v0, vcc
	v_ashrrev_i32_e32 v4, 31, v32
	v_add_co_u32_e32 v1, vcc, v1, v32
	s_ashr_i32 s0, s6, 31
	v_addc_co_u32_e32 v4, vcc, v0, v4, vcc
	v_mov_b32_e32 v5, s0
	v_add_co_u32_e32 v0, vcc, s6, v1
	v_addc_co_u32_e32 v1, vcc, v4, v5, vcc
	v_lshlrev_b64 v[0:1], 3, v[0:1]
	v_add_u32_e32 v32, v30, v42
	v_add_co_u32_e32 v28, vcc, s22, v0
	v_add_u32_e32 v0, v32, v63
	v_mov_b32_e32 v4, s23
	buffer_store_dword v0, off, s[36:39], 0 offset:32 ; 4-byte Folded Spill
	v_add_u32_e32 v0, s6, v0
	v_addc_co_u32_e32 v29, vcc, v4, v1, vcc
	v_ashrrev_i32_e32 v1, 31, v0
	v_lshlrev_b64 v[4:5], 3, v[0:1]
	v_mov_b32_e32 v0, s23
	v_add_co_u32_e32 v18, vcc, s22, v4
	v_addc_co_u32_e32 v19, vcc, v0, v5, vcc
	global_load_dwordx2 v[0:1], v[12:13], off
	global_load_dwordx2 v[6:7], v[8:9], off
	s_mov_b32 s2, 0
	s_mov_b32 s3, 0x40080000
	;; [unrolled: 1-line block ×4, first 2 shown]
	s_waitcnt vmcnt(0)
	buffer_store_dword v6, off, s[36:39], 0 offset:660 ; 4-byte Folded Spill
	s_nop 0
	buffer_store_dword v7, off, s[36:39], 0 offset:664 ; 4-byte Folded Spill
	v_fma_f64 v[30:31], v[0:1], 2.0, v[6:7]
	buffer_store_dword v30, off, s[36:39], 0 offset:492 ; 4-byte Folded Spill
	s_nop 0
	buffer_store_dword v31, off, s[36:39], 0 offset:496 ; 4-byte Folded Spill
	global_load_dwordx2 v[12:13], v[20:21], off
	global_load_dwordx2 v[0:1], v[10:11], off
	s_waitcnt vmcnt(0)
	buffer_store_dword v0, off, s[36:39], 0 offset:652 ; 4-byte Folded Spill
	s_nop 0
	buffer_store_dword v1, off, s[36:39], 0 offset:656 ; 4-byte Folded Spill
	global_load_dwordx2 v[14:15], v[22:23], off
	s_nop 0
	global_load_dwordx2 v[24:25], v[24:25], off
	s_waitcnt vmcnt(0)
	buffer_store_dword v24, off, s[36:39], 0 offset:608 ; 4-byte Folded Spill
	s_nop 0
	buffer_store_dword v25, off, s[36:39], 0 offset:612 ; 4-byte Folded Spill
	global_load_dwordx2 v[20:21], v[26:27], off
	global_load_dwordx2 v[6:7], v[2:3], off
	s_waitcnt vmcnt(0)
	buffer_store_dword v6, off, s[36:39], 0 offset:620 ; 4-byte Folded Spill
	s_nop 0
	buffer_store_dword v7, off, s[36:39], 0 offset:624 ; 4-byte Folded Spill
	global_load_dwordx4 v[8:11], v[28:29], off offset:-16
	s_waitcnt vmcnt(0)
	buffer_store_dword v8, off, s[36:39], 0 offset:152 ; 4-byte Folded Spill
	s_nop 0
	buffer_store_dword v9, off, s[36:39], 0 offset:156 ; 4-byte Folded Spill
	buffer_store_dword v10, off, s[36:39], 0 offset:160 ; 4-byte Folded Spill
	;; [unrolled: 1-line block ×3, first 2 shown]
	v_fma_f64 v[6:7], v[20:21], 2.0, v[6:7]
	v_fma_f64 v[20:21], v[14:15], 2.0, v[24:25]
	v_mul_f64 v[2:3], v[30:31], v[8:9]
	v_mul_f64 v[26:27], v[8:9], v[2:3]
	v_fma_f64 v[8:9], v[12:13], 2.0, v[0:1]
	buffer_store_dword v8, off, s[36:39], 0 offset:500 ; 4-byte Folded Spill
	s_nop 0
	buffer_store_dword v9, off, s[36:39], 0 offset:504 ; 4-byte Folded Spill
	buffer_store_dword v6, off, s[36:39], 0 offset:544 ; 4-byte Folded Spill
	s_nop 0
	buffer_store_dword v7, off, s[36:39], 0 offset:548 ; 4-byte Folded Spill
	;; [unrolled: 3-line block ×4, first 2 shown]
	global_load_dwordx4 v[0:3], v[18:19], off
	v_mul_f64 v[24:25], v[8:9], v[10:11]
	s_waitcnt vmcnt(0)
	v_mul_f64 v[20:21], v[20:21], v[0:1]
	v_mul_f64 v[22:23], v[6:7], v[2:3]
	v_mov_b32_e32 v62, v3
	v_mov_b32_e32 v61, v2
	v_mul_f64 v[36:37], v[10:11], v[24:25]
	v_mov_b32_e32 v60, v1
	v_mov_b32_e32 v59, v0
	v_mul_f64 v[20:21], v[0:1], v[20:21]
	v_mul_f64 v[22:23], v[2:3], v[22:23]
	v_mov_b32_e32 v0, s17
	v_mul_f64 v[20:21], v[46:47], v[20:21]
	v_mul_f64 v[24:25], v[48:49], v[22:23]
	buffer_store_dword v46, off, s[36:39], 0 offset:216 ; 4-byte Folded Spill
	s_nop 0
	buffer_store_dword v47, off, s[36:39], 0 offset:220 ; 4-byte Folded Spill
	buffer_store_dword v48, off, s[36:39], 0 offset:224 ; 4-byte Folded Spill
	;; [unrolled: 1-line block ×3, first 2 shown]
	global_load_dwordx4 v[6:9], v[16:17], off offset:-16
	s_waitcnt vmcnt(0)
	buffer_store_dword v6, off, s[36:39], 0 offset:560 ; 4-byte Folded Spill
	s_nop 0
	buffer_store_dword v7, off, s[36:39], 0 offset:564 ; 4-byte Folded Spill
	buffer_store_dword v8, off, s[36:39], 0 offset:568 ; 4-byte Folded Spill
	;; [unrolled: 1-line block ×4, first 2 shown]
	s_nop 0
	buffer_store_dword v5, off, s[36:39], 0 offset:300 ; 4-byte Folded Spill
	v_fma_f64 v[22:23], v[48:49], v[22:23], v[20:21]
	v_fma_f64 v[28:29], v[6:7], v[26:27], v[24:25]
	;; [unrolled: 1-line block ×3, first 2 shown]
	v_mul_f64 v[35:36], v[8:9], v[36:37]
	v_add_co_u32_e32 v46, vcc, s16, v4
	v_addc_co_u32_e32 v47, vcc, v0, v5, vcc
	global_load_dwordx4 v[0:3], v[46:47], off
	global_load_dwordx4 v[51:54], v[46:47], off offset:-16
	v_fma_f64 v[26:27], v[6:7], v[26:27], v[20:21]
	v_fma_f64 v[33:34], v[30:31], s[2:3], v[28:29]
	;; [unrolled: 1-line block ×3, first 2 shown]
	s_waitcnt vmcnt(1)
	v_mov_b32_e32 v31, v3
	s_waitcnt vmcnt(0)
	v_add_f64 v[53:54], v[53:54], -v[0:1]
	v_add_f64 v[50:51], v[51:52], -v[0:1]
	v_mov_b32_e32 v30, v2
	v_mov_b32_e32 v29, v1
	;; [unrolled: 1-line block ×3, first 2 shown]
	v_add_u32_e32 v0, 2, v44
	buffer_store_dword v0, off, s[36:39], 0 offset:552 ; 4-byte Folded Spill
	v_mul_f64 v[33:34], v[33:34], v[53:54]
	v_fma_f64 v[26:27], v[26:27], v[50:51], v[33:34]
	v_add_u32_e32 v33, v45, v0
	v_ashrrev_i32_e32 v34, 31, v33
	v_lshlrev_b64 v[33:34], 3, v[33:34]
	v_mov_b32_e32 v0, s19
	v_add_co_u32_e32 v44, vcc, s18, v33
	v_addc_co_u32_e32 v45, vcc, v0, v34, vcc
	v_mov_b32_e32 v0, s21
	v_add_co_u32_e32 v33, vcc, s20, v33
	v_addc_co_u32_e32 v34, vcc, v0, v34, vcc
	global_load_dwordx2 v[44:45], v[44:45], off
	s_nop 0
	global_load_dwordx2 v[0:1], v[33:34], off
	s_waitcnt vmcnt(0)
	buffer_store_dword v0, off, s[36:39], 0 offset:676 ; 4-byte Folded Spill
	s_nop 0
	buffer_store_dword v1, off, s[36:39], 0 offset:680 ; 4-byte Folded Spill
	global_load_dwordx2 v[6:7], v[18:19], off offset:16
	global_load_dwordx2 v[2:3], v[16:17], off offset:16
	v_fma_f64 v[4:5], v[44:45], 2.0, v[0:1]
	buffer_store_dword v4, off, s[36:39], 0 offset:668 ; 4-byte Folded Spill
	s_nop 0
	buffer_store_dword v5, off, s[36:39], 0 offset:672 ; 4-byte Folded Spill
	s_waitcnt vmcnt(3)
	buffer_store_dword v6, off, s[36:39], 0 offset:684 ; 4-byte Folded Spill
	s_nop 0
	buffer_store_dword v7, off, s[36:39], 0 offset:688 ; 4-byte Folded Spill
	s_waitcnt vmcnt(4)
	buffer_store_dword v2, off, s[36:39], 0 offset:484 ; 4-byte Folded Spill
	s_nop 0
	buffer_store_dword v3, off, s[36:39], 0 offset:488 ; 4-byte Folded Spill
	v_mul_f64 v[16:17], v[4:5], v[6:7]
	v_mul_f64 v[16:17], v[6:7], v[16:17]
	v_fma_f64 v[18:19], v[2:3], v[16:17], v[35:36]
	v_fma_f64 v[16:17], v[2:3], v[16:17], v[20:21]
	global_load_dwordx2 v[20:21], v[46:47], off offset:16
	v_fma_f64 v[18:19], v[22:23], s[2:3], v[18:19]
	v_add_f64 v[22:23], v[30:31], -v[28:29]
	v_fma_f64 v[16:17], v[16:17], s[4:5], v[24:25]
	v_fma_f64 v[18:19], v[18:19], v[22:23], v[26:27]
	s_waitcnt vmcnt(0)
	v_add_f64 v[20:21], v[20:21], -v[28:29]
	v_fma_f64 v[0:1], v[16:17], v[20:21], v[18:19]
	buffer_store_dword v0, off, s[36:39], 0 offset:716 ; 4-byte Folded Spill
	s_nop 0
	buffer_store_dword v1, off, s[36:39], 0 offset:720 ; 4-byte Folded Spill
	v_add_u32_e32 v0, -2, v43
	v_mul_lo_u32 v2, v0, s28
	v_mov_b32_e32 v0, s19
	v_add3_u32 v18, v63, v2, v39
	v_ashrrev_i32_e32 v19, 31, v18
	v_add_u32_e32 v1, s28, v2
	v_lshlrev_b64 v[18:19], 3, v[18:19]
	v_add3_u32 v20, v63, v1, v39
	v_ashrrev_i32_e32 v21, 31, v20
	v_add_co_u32_e32 v18, vcc, s18, v18
	v_lshlrev_b64 v[20:21], 3, v[20:21]
	v_addc_co_u32_e32 v19, vcc, v0, v19, vcc
	v_add_co_u32_e32 v20, vcc, s18, v20
	v_addc_co_u32_e32 v21, vcc, v0, v21, vcc
	v_lshl_add_u32 v0, s28, 1, v1
	v_add3_u32 v22, v63, v0, v39
	v_ashrrev_i32_e32 v23, 31, v22
	v_lshlrev_b64 v[22:23], 3, v[22:23]
	v_mov_b32_e32 v3, v2
	v_mov_b32_e32 v2, v0
	;; [unrolled: 1-line block ×3, first 2 shown]
	v_add_co_u32_e32 v30, vcc, s18, v22
	v_addc_co_u32_e32 v31, vcc, v0, v23, vcc
	v_add_u32_e32 v0, v3, v42
	buffer_store_dword v0, off, s[36:39], 0 offset:356 ; 4-byte Folded Spill
	v_add_u32_e32 v0, v0, v63
	v_add_u32_e32 v22, s6, v0
	v_ashrrev_i32_e32 v23, 31, v22
	v_lshlrev_b64 v[22:23], 3, v[22:23]
	buffer_store_dword v0, off, s[36:39], 0 offset:332 ; 4-byte Folded Spill
	v_mov_b32_e32 v0, s23
	v_add_co_u32_e32 v33, vcc, s22, v22
	v_addc_co_u32_e32 v34, vcc, v0, v23, vcc
	v_mov_b32_e32 v0, s17
	v_add_co_u32_e32 v24, vcc, s16, v22
	v_addc_co_u32_e32 v25, vcc, v0, v23, vcc
	v_add_u32_e32 v0, v1, v42
	buffer_store_dword v0, off, s[36:39], 0 offset:316 ; 4-byte Folded Spill
	v_add_u32_e32 v0, v0, v63
	v_add_u32_e32 v22, s6, v0
	v_ashrrev_i32_e32 v23, 31, v22
	v_lshlrev_b64 v[22:23], 3, v[22:23]
	buffer_store_dword v0, off, s[36:39], 0 offset:304 ; 4-byte Folded Spill
	v_mov_b32_e32 v0, s23
	v_add_co_u32_e32 v35, vcc, s22, v22
	v_addc_co_u32_e32 v36, vcc, v0, v23, vcc
	v_mov_b32_e32 v0, s17
	v_add_co_u32_e32 v26, vcc, s16, v22
	v_mov_b32_e32 v10, v2
	buffer_store_dword v3, off, s[36:39], 0 offset:576 ; 4-byte Folded Spill
	buffer_store_dword v1, off, s[36:39], 0 offset:536 ; 4-byte Folded Spill
	v_addc_co_u32_e32 v27, vcc, v0, v23, vcc
	v_add_u32_e32 v0, v2, v42
	buffer_store_dword v10, off, s[36:39], 0 offset:644 ; 4-byte Folded Spill
	buffer_store_dword v0, off, s[36:39], 0 offset:324 ; 4-byte Folded Spill
	global_load_dwordx2 v[45:46], v[18:19], off
	v_add_u32_e32 v0, v0, v63
	buffer_store_dword v0, off, s[36:39], 0 offset:308 ; 4-byte Folded Spill
	s_waitcnt vmcnt(1)
	buffer_store_dword v45, off, s[36:39], 0 offset:348 ; 4-byte Folded Spill
	s_nop 0
	buffer_store_dword v46, off, s[36:39], 0 offset:352 ; 4-byte Folded Spill
	global_load_dwordx2 v[18:19], v[33:34], off
	s_nop 0
	global_load_dwordx2 v[30:31], v[30:31], off
	v_add_u32_e32 v22, s6, v0
	v_ashrrev_i32_e32 v23, 31, v22
	v_lshlrev_b64 v[22:23], 3, v[22:23]
	v_mov_b32_e32 v0, s23
	v_add_co_u32_e32 v43, vcc, s22, v22
	v_addc_co_u32_e32 v44, vcc, v0, v23, vcc
	s_waitcnt vmcnt(0)
	buffer_store_dword v30, off, s[36:39], 0 offset:24 ; 4-byte Folded Spill
	s_nop 0
	buffer_store_dword v31, off, s[36:39], 0 offset:28 ; 4-byte Folded Spill
	global_load_dwordx2 v[4:5], v[43:44], off
	global_load_dwordx2 v[2:3], v[20:21], off
	s_waitcnt vmcnt(0)
	buffer_store_dword v2, off, s[36:39], 0 offset:8 ; 4-byte Folded Spill
	s_nop 0
	buffer_store_dword v3, off, s[36:39], 0 offset:12 ; 4-byte Folded Spill
	global_load_dwordx2 v[0:1], v[35:36], off
	v_mov_b32_e32 v21, v19
	v_mov_b32_e32 v20, v18
	s_waitcnt vmcnt(0)
	buffer_store_dword v0, off, s[36:39], 0 ; 4-byte Folded Spill
	s_nop 0
	buffer_store_dword v1, off, s[36:39], 0 offset:4 ; 4-byte Folded Spill
	buffer_store_dword v20, off, s[36:39], 0 offset:340 ; 4-byte Folded Spill
	s_nop 0
	buffer_store_dword v21, off, s[36:39], 0 offset:344 ; 4-byte Folded Spill
	buffer_store_dword v59, off, s[36:39], 0 offset:692 ; 4-byte Folded Spill
	;; [unrolled: 3-line block ×3, first 2 shown]
	buffer_store_dword v62, off, s[36:39], 0 offset:704 ; 4-byte Folded Spill
	buffer_store_dword v4, off, s[36:39], 0 offset:16 ; 4-byte Folded Spill
	s_nop 0
	buffer_store_dword v5, off, s[36:39], 0 offset:20 ; 4-byte Folded Spill
	v_add_co_u32_e32 v22, vcc, s16, v22
	v_mul_f64 v[18:19], v[45:46], v[20:21]
	v_mul_f64 v[16:17], v[20:21], v[18:19]
	;; [unrolled: 1-line block ×7, first 2 shown]
	v_mov_b32_e32 v9, v5
	v_mov_b32_e32 v8, v4
	buffer_store_dword v8, off, s[36:39], 0 offset:636 ; 4-byte Folded Spill
	s_nop 0
	buffer_store_dword v9, off, s[36:39], 0 offset:640 ; 4-byte Folded Spill
	v_mul_f64 v[6:7], v[0:1], v[20:21]
	global_load_dwordx4 v[0:3], v[40:41], off offset:-16
	s_waitcnt vmcnt(0)
	buffer_store_dword v0, off, s[36:39], 0 offset:364 ; 4-byte Folded Spill
	s_nop 0
	buffer_store_dword v1, off, s[36:39], 0 offset:368 ; 4-byte Folded Spill
	buffer_store_dword v2, off, s[36:39], 0 offset:372 ; 4-byte Folded Spill
	;; [unrolled: 1-line block ×4, first 2 shown]
	s_nop 0
	buffer_store_dword v17, off, s[36:39], 0 offset:632 ; 4-byte Folded Spill
	buffer_store_dword v6, off, s[36:39], 0 offset:584 ; 4-byte Folded Spill
	s_nop 0
	buffer_store_dword v7, off, s[36:39], 0 offset:588 ; 4-byte Folded Spill
	global_load_dwordx2 v[26:27], v[26:27], off
	v_mul_f64 v[18:19], v[55:56], v[18:19]
	global_load_dwordx2 v[24:25], v[24:25], off
	v_mul_f64 v[20:21], v[57:58], v[4:5]
	buffer_store_dword v63, off, s[36:39], 0 offset:844 ; 4-byte Folded Spill
	v_mov_b32_e32 v59, v58
	v_mov_b32_e32 v58, v57
	;; [unrolled: 1-line block ×6, first 2 shown]
	v_fma_f64 v[30:31], v[0:1], v[16:17], v[20:21]
	v_fma_f64 v[33:34], v[2:3], v[6:7], v[18:19]
	s_waitcnt vmcnt(2)
	v_add_f64 v[26:27], v[26:27], -v[28:29]
	s_waitcnt vmcnt(1)
	v_add_f64 v[24:25], v[24:25], -v[28:29]
	v_fma_f64 v[30:31], v[33:34], s[2:3], v[30:31]
	v_fma_f64 v[33:34], v[0:1], v[16:17], v[18:19]
	v_mov_b32_e32 v0, s17
	v_addc_co_u32_e32 v23, vcc, v0, v23, vcc
	v_add_u32_e32 v0, s28, v10
	v_mov_b32_e32 v1, v0
	buffer_store_dword v1, off, s[36:39], 0 offset:836 ; 4-byte Folded Spill
	v_mul_f64 v[30:31], v[30:31], v[26:27]
	v_mul_f64 v[26:27], v[2:3], v[6:7]
	v_fma_f64 v[33:34], v[33:34], s[4:5], v[26:27]
	v_fma_f64 v[24:25], v[33:34], v[24:25], v[30:31]
	v_add3_u32 v30, v63, v0, v39
	v_ashrrev_i32_e32 v31, 31, v30
	v_lshlrev_b64 v[30:31], 3, v[30:31]
	v_mov_b32_e32 v0, s19
	v_add_co_u32_e32 v30, vcc, s18, v30
	v_addc_co_u32_e32 v31, vcc, v0, v31, vcc
	global_load_dwordx2 v[2:3], v[30:31], off
	v_add_u32_e32 v0, v1, v42
	buffer_store_dword v0, off, s[36:39], 0 offset:472 ; 4-byte Folded Spill
	v_add_u32_e32 v0, v0, v63
	v_add_u32_e32 v33, s6, v0
	v_ashrrev_i32_e32 v34, 31, v33
	v_lshlrev_b64 v[33:34], 3, v[33:34]
	buffer_store_dword v0, off, s[36:39], 0 offset:428 ; 4-byte Folded Spill
	v_mov_b32_e32 v0, s23
	v_add_co_u32_e32 v35, vcc, s22, v33
	v_addc_co_u32_e32 v36, vcc, v0, v34, vcc
	s_waitcnt vmcnt(2)
	buffer_store_dword v2, off, s[36:39], 0 offset:412 ; 4-byte Folded Spill
	s_nop 0
	buffer_store_dword v3, off, s[36:39], 0 offset:416 ; 4-byte Folded Spill
	global_load_dwordx2 v[0:1], v[35:36], off
	s_waitcnt vmcnt(0)
	buffer_store_dword v0, off, s[36:39], 0 offset:404 ; 4-byte Folded Spill
	s_nop 0
	buffer_store_dword v1, off, s[36:39], 0 offset:408 ; 4-byte Folded Spill
	global_load_dwordx2 v[4:5], v[40:41], off offset:16
	v_mul_f64 v[14:15], v[2:3], v[0:1]
	v_mul_f64 v[0:1], v[0:1], v[14:15]
	s_waitcnt vmcnt(0)
	v_fma_f64 v[14:15], v[4:5], v[0:1], v[26:27]
	v_mov_b32_e32 v2, v1
	v_mov_b32_e32 v1, v0
	buffer_store_dword v1, off, s[36:39], 0 offset:732 ; 4-byte Folded Spill
	s_nop 0
	buffer_store_dword v2, off, s[36:39], 0 offset:736 ; 4-byte Folded Spill
	buffer_store_dword v4, off, s[36:39], 0 offset:420 ; 4-byte Folded Spill
	s_nop 0
	buffer_store_dword v5, off, s[36:39], 0 offset:424 ; 4-byte Folded Spill
	global_load_dwordx2 v[22:23], v[22:23], off
	v_fma_f64 v[26:27], v[58:59], v[8:9], v[18:19]
	v_mov_b32_e32 v0, s17
	v_fma_f64 v[14:15], v[26:27], s[2:3], v[14:15]
	v_fma_f64 v[18:19], v[4:5], v[1:2], v[18:19]
	v_mov_b32_e32 v2, s23
	s_waitcnt vmcnt(0)
	v_add_f64 v[22:23], v[22:23], -v[54:55]
	v_fma_f64 v[18:19], v[18:19], s[4:5], v[20:21]
	v_fma_f64 v[14:15], v[14:15], v[22:23], v[24:25]
	v_add_co_u32_e32 v22, vcc, s16, v33
	v_addc_co_u32_e32 v23, vcc, v0, v34, vcc
	global_load_dwordx2 v[20:21], v[22:23], off
	s_waitcnt vmcnt(0)
	v_add_f64 v[20:21], v[20:21], -v[54:55]
	v_fma_f64 v[0:1], v[18:19], v[20:21], v[14:15]
	buffer_store_dword v0, off, s[36:39], 0 offset:748 ; 4-byte Folded Spill
	s_nop 0
	buffer_store_dword v1, off, s[36:39], 0 offset:752 ; 4-byte Folded Spill
	buffer_load_dword v41, off, s[36:39], 0 offset:264 ; 4-byte Folded Reload
	v_add_u32_e32 v0, -2, v38
	v_mul_lo_u32 v0, v0, s8
	v_mov_b32_e32 v1, v0
	v_add_u32_e32 v33, v1, v32
	v_add_u32_e32 v22, s9, v33
	;; [unrolled: 1-line block ×4, first 2 shown]
	v_ashrrev_i32_e32 v26, 31, v25
	v_lshlrev_b64 v[25:26], 3, v[25:26]
	buffer_store_dword v1, off, s[36:39], 0 offset:480 ; 4-byte Folded Spill
	v_ashrrev_i32_e32 v23, 31, v22
	v_lshlrev_b64 v[28:29], 3, v[22:23]
	s_waitcnt vmcnt(1)
	v_add_u32_e32 v18, v0, v41
	v_ashrrev_i32_e32 v19, 31, v18
	v_lshlrev_b64 v[20:21], 3, v[18:19]
	v_mov_b32_e32 v0, s19
	v_add_co_u32_e32 v18, vcc, s18, v20
	v_addc_co_u32_e32 v19, vcc, v0, v21, vcc
	v_mov_b32_e32 v0, s21
	v_add_co_u32_e32 v20, vcc, s20, v20
	v_addc_co_u32_e32 v21, vcc, v0, v21, vcc
	;; [unrolled: 3-line block ×3, first 2 shown]
	v_add_u32_e32 v0, s8, v1
	v_add_u32_e32 v25, v0, v41
	v_mov_b32_e32 v1, v0
	v_ashrrev_i32_e32 v26, 31, v25
	v_add_u32_e32 v49, v1, v32
	v_lshlrev_b64 v[30:31], 3, v[25:26]
	v_add_u32_e32 v39, s9, v49
	v_add_u32_e32 v45, s6, v39
	v_mov_b32_e32 v0, s19
	v_add_co_u32_e32 v26, vcc, s18, v30
	v_add_u32_e32 v34, s6, v45
	v_addc_co_u32_e32 v27, vcc, v0, v31, vcc
	v_ashrrev_i32_e32 v35, 31, v34
	v_mov_b32_e32 v0, s21
	v_add_co_u32_e32 v30, vcc, s20, v30
	v_lshlrev_b64 v[34:35], 3, v[34:35]
	v_addc_co_u32_e32 v31, vcc, v0, v31, vcc
	v_mov_b32_e32 v0, s23
	v_add_co_u32_e32 v47, vcc, s22, v34
	v_addc_co_u32_e32 v48, vcc, v0, v35, vcc
	buffer_load_dword v0, off, s[36:39], 0 offset:32 ; 4-byte Folded Reload
	v_ashrrev_i32_e32 v25, 31, v24
	v_lshlrev_b64 v[3:4], 3, v[24:25]
	v_lshl_add_u32 v6, s8, 1, v1
	buffer_store_dword v1, off, s[36:39], 0 offset:468 ; 4-byte Folded Spill
	v_add_u32_e32 v9, v6, v32
	v_add_u32_e32 v52, s9, v9
	;; [unrolled: 1-line block ×4, first 2 shown]
	v_ashrrev_i32_e32 v43, 31, v42
	v_lshlrev_b64 v[42:43], 3, v[42:43]
	v_mov_b32_e32 v1, s23
	v_ashrrev_i32_e32 v46, 31, v45
	v_ashrrev_i32_e32 v40, 31, v39
	;; [unrolled: 1-line block ×4, first 2 shown]
	s_waitcnt vmcnt(1)
	v_add_u32_e32 v38, s9, v0
	v_add_u32_e32 v44, s6, v38
	;; [unrolled: 1-line block ×3, first 2 shown]
	v_ashrrev_i32_e32 v35, 31, v34
	v_lshlrev_b64 v[34:35], 3, v[34:35]
	v_mov_b32_e32 v0, s23
	v_add_co_u32_e32 v7, vcc, s22, v34
	v_addc_co_u32_e32 v8, vcc, v0, v35, vcc
	buffer_store_dword v7, off, s[36:39], 0 offset:708 ; 4-byte Folded Spill
	s_nop 0
	buffer_store_dword v8, off, s[36:39], 0 offset:712 ; 4-byte Folded Spill
	buffer_store_dword v6, off, s[36:39], 0 offset:516 ; 4-byte Folded Spill
	buffer_store_dword v3, off, s[36:39], 0 offset:772 ; 4-byte Folded Spill
	s_nop 0
	buffer_store_dword v4, off, s[36:39], 0 offset:776 ; 4-byte Folded Spill
	v_add_u32_e32 v34, v6, v41
	v_ashrrev_i32_e32 v35, 31, v34
	v_lshlrev_b64 v[34:35], 3, v[34:35]
	v_mov_b32_e32 v0, s19
	v_add_co_u32_e32 v50, vcc, s18, v34
	v_addc_co_u32_e32 v51, vcc, v0, v35, vcc
	v_mov_b32_e32 v0, s21
	v_add_co_u32_e32 v34, vcc, s20, v34
	v_addc_co_u32_e32 v35, vcc, v0, v35, vcc
	;; [unrolled: 3-line block ×3, first 2 shown]
	v_add_co_u32_e32 v0, vcc, s22, v28
	v_addc_co_u32_e32 v1, vcc, v1, v29, vcc
	v_lshlrev_b64 v[42:43], 3, v[52:53]
	v_add_co_u32_e32 v24, vcc, s22, v3
	v_addc_co_u32_e32 v25, vcc, v2, v4, vcc
	global_load_dwordx2 v[10:11], v[24:25], off
	s_waitcnt vmcnt(0)
	buffer_store_dword v10, off, s[36:39], 0 offset:128 ; 4-byte Folded Spill
	s_nop 0
	buffer_store_dword v11, off, s[36:39], 0 offset:132 ; 4-byte Folded Spill
	global_load_dwordx2 v[14:15], v[18:19], off
	s_waitcnt vmcnt(0)
	buffer_store_dword v14, off, s[36:39], 0 offset:104 ; 4-byte Folded Spill
	s_nop 0
	buffer_store_dword v15, off, s[36:39], 0 offset:108 ; 4-byte Folded Spill
	;; [unrolled: 5-line block ×3, first 2 shown]
	global_load_dwordx2 v[4:5], v[0:1], off
	global_load_dwordx2 v[12:13], v[36:37], off
	s_waitcnt vmcnt(0)
	buffer_store_dword v12, off, s[36:39], 0 offset:96 ; 4-byte Folded Spill
	s_nop 0
	buffer_store_dword v13, off, s[36:39], 0 offset:100 ; 4-byte Folded Spill
	buffer_store_dword v4, off, s[36:39], 0 offset:72 ; 4-byte Folded Spill
	s_nop 0
	buffer_store_dword v5, off, s[36:39], 0 offset:76 ; 4-byte Folded Spill
	v_fma_f64 v[18:19], v[14:15], 2.0, v[2:3]
	v_mul_f64 v[0:1], v[56:57], v[10:11]
	v_lshlrev_b64 v[24:25], 3, v[39:40]
	v_ashrrev_i32_e32 v39, 31, v38
	v_mul_f64 v[0:1], v[10:11], v[0:1]
	v_mul_f64 v[0:1], v[56:57], v[0:1]
	v_fma_f64 v[0:1], v[12:13], v[12:13], v[0:1]
	v_mul_f64 v[2:3], v[18:19], v[4:5]
	buffer_store_dword v2, off, s[36:39], 0 offset:848 ; 4-byte Folded Spill
	s_nop 0
	buffer_store_dword v3, off, s[36:39], 0 offset:852 ; 4-byte Folded Spill
	buffer_load_dword v20, off, s[36:39], 0 offset:216 ; 4-byte Folded Reload
	buffer_load_dword v21, off, s[36:39], 0 offset:220 ; 4-byte Folded Reload
	;; [unrolled: 1-line block ×4, first 2 shown]
	v_mul_f64 v[0:1], v[14:15], v[0:1]
	s_waitcnt vmcnt(2)
	v_mul_f64 v[18:19], v[20:21], v[2:3]
	v_mov_b32_e32 v2, s23
	s_waitcnt vmcnt(0)
	v_mov_b32_e32 v10, v20
	v_mov_b32_e32 v11, v21
	;; [unrolled: 1-line block ×4, first 2 shown]
	v_mul_f64 v[18:19], v[4:5], v[18:19]
	v_lshlrev_b64 v[3:4], 3, v[45:46]
	buffer_store_dword v3, off, s[36:39], 0 offset:780 ; 4-byte Folded Spill
	s_nop 0
	buffer_store_dword v4, off, s[36:39], 0 offset:784 ; 4-byte Folded Spill
	v_ashrrev_i32_e32 v45, 31, v44
	v_fma_f64 v[0:1], v[20:21], v[18:19], v[0:1]
	v_add_co_u32_e32 v20, vcc, s22, v24
	v_addc_co_u32_e32 v21, vcc, v2, v25, vcc
	v_add_co_u32_e32 v36, vcc, s22, v3
	v_addc_co_u32_e32 v37, vcc, v2, v4, vcc
	global_load_dwordx2 v[22:23], v[36:37], off
	global_load_dwordx2 v[14:15], v[26:27], off
	s_waitcnt vmcnt(0)
	buffer_store_dword v14, off, s[36:39], 0 offset:112 ; 4-byte Folded Spill
	s_nop 0
	buffer_store_dword v15, off, s[36:39], 0 offset:116 ; 4-byte Folded Spill
	global_load_dwordx2 v[2:3], v[30:31], off
	s_waitcnt vmcnt(0)
	buffer_store_dword v2, off, s[36:39], 0 offset:32 ; 4-byte Folded Spill
	s_nop 0
	buffer_store_dword v3, off, s[36:39], 0 offset:36 ; 4-byte Folded Spill
	global_load_dwordx2 v[4:5], v[20:21], off
	global_load_dwordx2 v[16:17], v[47:48], off
	s_waitcnt vmcnt(0)
	buffer_store_dword v16, off, s[36:39], 0 offset:80 ; 4-byte Folded Spill
	s_nop 0
	buffer_store_dword v17, off, s[36:39], 0 offset:84 ; 4-byte Folded Spill
	buffer_store_dword v4, off, s[36:39], 0 offset:40 ; 4-byte Folded Spill
	s_nop 0
	buffer_store_dword v5, off, s[36:39], 0 offset:44 ; 4-byte Folded Spill
	v_fma_f64 v[26:27], v[14:15], 2.0, v[2:3]
	v_mul_f64 v[20:21], v[56:57], v[22:23]
	v_add_co_u32_e32 v30, vcc, s22, v42
	v_mul_f64 v[20:21], v[22:23], v[20:21]
	v_mul_f64 v[20:21], v[56:57], v[20:21]
	v_fma_f64 v[20:21], v[16:17], v[16:17], v[20:21]
	v_mul_f64 v[2:3], v[26:27], v[4:5]
	buffer_store_dword v2, off, s[36:39], 0 offset:856 ; 4-byte Folded Spill
	s_nop 0
	buffer_store_dword v3, off, s[36:39], 0 offset:860 ; 4-byte Folded Spill
	v_mul_f64 v[20:21], v[14:15], v[20:21]
	v_mul_f64 v[26:27], v[10:11], v[2:3]
	v_mov_b32_e32 v2, s23
	v_addc_co_u32_e32 v31, vcc, v2, v43, vcc
	v_mul_f64 v[26:27], v[4:5], v[26:27]
	v_lshlrev_b64 v[3:4], 3, v[60:61]
	buffer_store_dword v3, off, s[36:39], 0 offset:788 ; 4-byte Folded Spill
	s_nop 0
	buffer_store_dword v4, off, s[36:39], 0 offset:792 ; 4-byte Folded Spill
	v_fma_f64 v[46:47], v[10:11], v[26:27], v[20:21]
	v_mov_b32_e32 v20, v54
	v_mov_b32_e32 v21, v55
	v_add_co_u32_e32 v36, vcc, s22, v3
	v_addc_co_u32_e32 v37, vcc, v2, v4, vcc
	global_load_dwordx2 v[14:15], v[36:37], off
	s_waitcnt vmcnt(0)
	buffer_store_dword v14, off, s[36:39], 0 offset:136 ; 4-byte Folded Spill
	s_nop 0
	buffer_store_dword v15, off, s[36:39], 0 offset:140 ; 4-byte Folded Spill
	global_load_dwordx2 v[18:19], v[50:51], off
	s_waitcnt vmcnt(0)
	buffer_store_dword v18, off, s[36:39], 0 offset:120 ; 4-byte Folded Spill
	s_nop 0
	buffer_store_dword v19, off, s[36:39], 0 offset:124 ; 4-byte Folded Spill
	;; [unrolled: 5-line block ×3, first 2 shown]
	global_load_dwordx2 v[4:5], v[30:31], off
	global_load_dwordx2 v[16:17], v[62:63], off
	s_waitcnt vmcnt(0)
	buffer_store_dword v16, off, s[36:39], 0 offset:88 ; 4-byte Folded Spill
	s_nop 0
	buffer_store_dword v17, off, s[36:39], 0 offset:92 ; 4-byte Folded Spill
	buffer_store_dword v4, off, s[36:39], 0 offset:56 ; 4-byte Folded Spill
	s_nop 0
	buffer_store_dword v5, off, s[36:39], 0 offset:60 ; 4-byte Folded Spill
	v_fma_f64 v[34:35], v[18:19], 2.0, v[2:3]
	v_mul_f64 v[30:31], v[56:57], v[14:15]
	v_lshlrev_b64 v[36:37], 3, v[38:39]
	v_mul_f64 v[30:31], v[14:15], v[30:31]
	v_mul_f64 v[30:31], v[56:57], v[30:31]
	v_fma_f64 v[30:31], v[16:17], v[16:17], v[30:31]
	v_mul_f64 v[2:3], v[34:35], v[4:5]
	buffer_store_dword v2, off, s[36:39], 0 offset:864 ; 4-byte Folded Spill
	s_nop 0
	buffer_store_dword v3, off, s[36:39], 0 offset:868 ; 4-byte Folded Spill
	v_mov_b32_e32 v17, v13
	v_mov_b32_e32 v15, v11
	;; [unrolled: 1-line block ×3, first 2 shown]
	v_mul_f64 v[30:31], v[18:19], v[30:31]
	v_mov_b32_e32 v16, v12
	v_add_co_u32_e32 v10, vcc, s22, v36
	v_mul_f64 v[34:35], v[14:15], v[2:3]
	v_mov_b32_e32 v2, s23
	v_addc_co_u32_e32 v11, vcc, v2, v37, vcc
	buffer_store_dword v10, off, s[36:39], 0 offset:208 ; 4-byte Folded Spill
	s_nop 0
	buffer_store_dword v11, off, s[36:39], 0 offset:212 ; 4-byte Folded Spill
	v_mul_f64 v[34:35], v[4:5], v[34:35]
	v_fma_f64 v[34:35], v[14:15], v[34:35], v[30:31]
	v_lshlrev_b64 v[30:31], 3, v[44:45]
	v_add_co_u32_e32 v3, vcc, s22, v30
	v_addc_co_u32_e32 v4, vcc, v2, v31, vcc
	buffer_store_dword v3, off, s[36:39], 0 offset:184 ; 4-byte Folded Spill
	s_nop 0
	buffer_store_dword v4, off, s[36:39], 0 offset:188 ; 4-byte Folded Spill
	global_load_dwordx4 v[60:63], v[10:11], off
	s_nop 0
	buffer_load_dword v10, off, s[36:39], 0 offset:168 ; 4-byte Folded Reload
	buffer_load_dword v11, off, s[36:39], 0 offset:172 ; 4-byte Folded Reload
	s_waitcnt vmcnt(0)
	v_mul_f64 v[12:13], v[10:11], v[60:61]
	global_load_dwordx4 v[2:5], v[3:4], off
	s_waitcnt vmcnt(0)
	buffer_store_dword v2, off, s[36:39], 0 offset:232 ; 4-byte Folded Spill
	s_nop 0
	buffer_store_dword v3, off, s[36:39], 0 offset:236 ; 4-byte Folded Spill
	buffer_store_dword v4, off, s[36:39], 0 offset:240 ; 4-byte Folded Spill
	;; [unrolled: 1-line block ×3, first 2 shown]
	v_mul_f64 v[12:13], v[14:15], v[12:13]
	v_mul_f64 v[12:13], v[60:61], v[12:13]
	;; [unrolled: 1-line block ×4, first 2 shown]
	global_load_dwordx4 v[2:5], v[7:8], off
	s_waitcnt vmcnt(0)
	buffer_store_dword v2, off, s[36:39], 0 offset:168 ; 4-byte Folded Spill
	s_nop 0
	buffer_store_dword v3, off, s[36:39], 0 offset:172 ; 4-byte Folded Spill
	buffer_store_dword v4, off, s[36:39], 0 offset:176 ; 4-byte Folded Spill
	buffer_store_dword v5, off, s[36:39], 0 offset:180 ; 4-byte Folded Spill
	buffer_store_dword v60, off, s[36:39], 0 offset:1024 ; 4-byte Folded Spill
	s_nop 0
	buffer_store_dword v61, off, s[36:39], 0 offset:1028 ; 4-byte Folded Spill
	buffer_store_dword v62, off, s[36:39], 0 offset:1032 ; 4-byte Folded Spill
	;; [unrolled: 1-line block ×3, first 2 shown]
	buffer_load_dword v10, off, s[36:39], 0 offset:740 ; 4-byte Folded Reload
	buffer_load_dword v11, off, s[36:39], 0 offset:744 ; 4-byte Folded Reload
	v_mul_f64 v[38:39], v[56:57], v[38:39]
	v_fma_f64 v[38:39], v[2:3], v[2:3], v[38:39]
	v_mov_b32_e32 v2, s17
	s_waitcnt vmcnt(0)
	v_mul_f64 v[38:39], v[10:11], v[38:39]
	v_fma_f64 v[38:39], v[14:15], v[12:13], v[38:39]
	v_add_f64 v[12:13], v[0:1], v[34:35]
	v_add_f64 v[44:45], v[46:47], v[38:39]
	;; [unrolled: 1-line block ×3, first 2 shown]
	v_fma_f64 v[12:13], v[44:45], s[2:3], v[12:13]
	v_add_u32_e32 v44, s6, v49
	v_ashrrev_i32_e32 v45, 31, v44
	v_lshlrev_b64 v[3:4], 3, v[44:45]
	buffer_store_dword v3, off, s[36:39], 0 offset:888 ; 4-byte Folded Spill
	s_nop 0
	buffer_store_dword v4, off, s[36:39], 0 offset:892 ; 4-byte Folded Spill
	v_fma_f64 v[0:1], v[0:1], s[4:5], v[46:47]
	v_add_co_u32_e32 v3, vcc, s16, v3
	v_addc_co_u32_e32 v4, vcc, v2, v4, vcc
	buffer_store_dword v3, off, s[36:39], 0 offset:248 ; 4-byte Folded Spill
	s_nop 0
	buffer_store_dword v4, off, s[36:39], 0 offset:252 ; 4-byte Folded Spill
	global_load_dwordx4 v[2:5], v[3:4], off
	s_waitcnt vmcnt(0)
	buffer_store_dword v2, off, s[36:39], 0 offset:872 ; 4-byte Folded Spill
	s_nop 0
	buffer_store_dword v3, off, s[36:39], 0 offset:876 ; 4-byte Folded Spill
	buffer_store_dword v4, off, s[36:39], 0 offset:880 ; 4-byte Folded Spill
	;; [unrolled: 1-line block ×3, first 2 shown]
	v_add_f64 v[44:45], v[2:3], -v[20:21]
	v_mov_b32_e32 v2, s17
	v_mul_f64 v[12:13], v[12:13], v[44:45]
	v_add_u32_e32 v44, s6, v33
	v_ashrrev_i32_e32 v45, 31, v44
	v_lshlrev_b64 v[3:4], 3, v[44:45]
	buffer_store_dword v3, off, s[36:39], 0 offset:912 ; 4-byte Folded Spill
	s_nop 0
	buffer_store_dword v4, off, s[36:39], 0 offset:916 ; 4-byte Folded Spill
	v_add_co_u32_e32 v3, vcc, s16, v3
	v_addc_co_u32_e32 v4, vcc, v2, v4, vcc
	buffer_store_dword v3, off, s[36:39], 0 offset:256 ; 4-byte Folded Spill
	s_nop 0
	buffer_store_dword v4, off, s[36:39], 0 offset:260 ; 4-byte Folded Spill
	global_load_dwordx4 v[2:5], v[3:4], off
	s_waitcnt vmcnt(0)
	buffer_store_dword v2, off, s[36:39], 0 offset:896 ; 4-byte Folded Spill
	s_nop 0
	buffer_store_dword v3, off, s[36:39], 0 offset:900 ; 4-byte Folded Spill
	buffer_store_dword v4, off, s[36:39], 0 offset:904 ; 4-byte Folded Spill
	;; [unrolled: 1-line block ×3, first 2 shown]
	v_mov_b32_e32 v4, s23
	v_mov_b32_e32 v5, s23
	v_add_f64 v[44:45], v[2:3], -v[20:21]
	v_fma_f64 v[2:3], v[0:1], v[44:45], v[12:13]
	v_add_u32_e32 v1, s8, v6
	v_add_u32_e32 v12, v1, v41
	v_ashrrev_i32_e32 v13, 31, v12
	v_lshlrev_b64 v[12:13], 3, v[12:13]
	v_mov_b32_e32 v0, s19
	v_add_co_u32_e32 v40, vcc, s18, v12
	v_addc_co_u32_e32 v41, vcc, v0, v13, vcc
	v_add_u32_e32 v48, v1, v32
	v_add_co_u32_e32 v44, vcc, s20, v12
	v_add_u32_e32 v12, s9, v48
	v_add_u32_e32 v32, s6, v12
	;; [unrolled: 1-line block ×3, first 2 shown]
	v_ashrrev_i32_e32 v53, 31, v52
	v_mov_b32_e32 v0, s21
	v_lshlrev_b64 v[52:53], 3, v[52:53]
	v_addc_co_u32_e32 v45, vcc, v0, v13, vcc
	v_ashrrev_i32_e32 v13, 31, v12
	v_mov_b32_e32 v0, s23
	v_add_co_u32_e32 v52, vcc, s22, v52
	v_lshlrev_b64 v[18:19], 3, v[12:13]
	v_addc_co_u32_e32 v53, vcc, v0, v53, vcc
	v_ashrrev_i32_e32 v33, 31, v32
	v_add_co_u32_e32 v12, vcc, s22, v18
	v_lshlrev_b64 v[32:33], 3, v[32:33]
	v_addc_co_u32_e32 v13, vcc, v4, v19, vcc
	v_add_co_u32_e32 v4, vcc, s22, v32
	buffer_store_dword v1, off, s[36:39], 0 offset:616 ; 4-byte Folded Spill
	v_addc_co_u32_e32 v5, vcc, v5, v33, vcc
	global_load_dwordx2 v[49:50], v[4:5], off
	global_load_dwordx2 v[26:27], v[40:41], off
	s_nop 0
	global_load_dwordx2 v[40:41], v[44:45], off
	s_nop 0
	;; [unrolled: 2-line block ×3, first 2 shown]
	global_load_dwordx2 v[53:54], v[52:53], off
	s_waitcnt vmcnt(4)
	v_mul_f64 v[4:5], v[56:57], v[49:50]
	s_waitcnt vmcnt(2)
	v_fma_f64 v[12:13], v[26:27], 2.0, v[40:41]
	v_mov_b32_e32 v52, v41
	v_mov_b32_e32 v51, v40
	buffer_store_dword v51, off, s[36:39], 0 offset:380 ; 4-byte Folded Spill
	s_nop 0
	buffer_store_dword v52, off, s[36:39], 0 offset:384 ; 4-byte Folded Spill
	v_add_f64 v[40:41], v[38:39], v[34:35]
	v_mul_f64 v[4:5], v[49:50], v[4:5]
	s_waitcnt vmcnt(3)
	v_mul_f64 v[6:7], v[12:13], v[44:45]
	buffer_store_dword v6, off, s[36:39], 0 offset:920 ; 4-byte Folded Spill
	s_nop 0
	buffer_store_dword v7, off, s[36:39], 0 offset:924 ; 4-byte Folded Spill
	v_mul_f64 v[4:5], v[56:57], v[4:5]
	s_waitcnt vmcnt(4)
	v_fma_f64 v[4:5], v[53:54], v[53:54], v[4:5]
	v_mul_f64 v[4:5], v[26:27], v[4:5]
	v_mul_f64 v[12:13], v[14:15], v[6:7]
	;; [unrolled: 1-line block ×3, first 2 shown]
	buffer_store_dword v44, off, s[36:39], 0 offset:388 ; 4-byte Folded Spill
	s_nop 0
	buffer_store_dword v45, off, s[36:39], 0 offset:392 ; 4-byte Folded Spill
	buffer_store_dword v26, off, s[36:39], 0 offset:452 ; 4-byte Folded Spill
	s_nop 0
	buffer_store_dword v27, off, s[36:39], 0 offset:456 ; 4-byte Folded Spill
	v_fma_f64 v[4:5], v[14:15], v[12:13], v[4:5]
	v_add_f64 v[12:13], v[46:47], v[4:5]
	v_add_f64 v[4:5], v[38:39], v[4:5]
	v_fma_f64 v[12:13], v[40:41], s[2:3], v[12:13]
	v_add_u32_e32 v40, s6, v9
	v_ashrrev_i32_e32 v41, 31, v40
	v_lshlrev_b64 v[0:1], 3, v[40:41]
	buffer_store_dword v0, off, s[36:39], 0 offset:944 ; 4-byte Folded Spill
	s_nop 0
	buffer_store_dword v1, off, s[36:39], 0 offset:948 ; 4-byte Folded Spill
	v_mov_b32_e32 v40, s17
	v_fma_f64 v[4:5], v[4:5], s[4:5], v[34:35]
	v_add_f64 v[26:27], v[26:27], v[51:52]
	v_mul_f64 v[26:27], v[26:27], v[44:45]
	v_add_co_u32_e32 v0, vcc, s16, v0
	v_addc_co_u32_e32 v1, vcc, v40, v1, vcc
	buffer_store_dword v0, off, s[36:39], 0 offset:264 ; 4-byte Folded Spill
	s_nop 0
	buffer_store_dword v1, off, s[36:39], 0 offset:268 ; 4-byte Folded Spill
	global_load_dwordx4 v[6:9], v[0:1], off
	s_waitcnt vmcnt(0)
	buffer_store_dword v6, off, s[36:39], 0 offset:928 ; 4-byte Folded Spill
	s_nop 0
	buffer_store_dword v7, off, s[36:39], 0 offset:932 ; 4-byte Folded Spill
	buffer_store_dword v8, off, s[36:39], 0 offset:936 ; 4-byte Folded Spill
	;; [unrolled: 1-line block ×3, first 2 shown]
	v_add_f64 v[40:41], v[6:7], -v[20:21]
	v_fma_f64 v[2:3], v[40:41], v[12:13], v[2:3]
	v_add_u32_e32 v12, s6, v48
	v_ashrrev_i32_e32 v13, 31, v12
	v_lshlrev_b64 v[0:1], 3, v[12:13]
	buffer_store_dword v0, off, s[36:39], 0 offset:1000 ; 4-byte Folded Spill
	s_nop 0
	buffer_store_dword v1, off, s[36:39], 0 offset:1004 ; 4-byte Folded Spill
	v_mov_b32_e32 v12, s17
	v_add_co_u32_e32 v46, vcc, s16, v0
	v_addc_co_u32_e32 v47, vcc, v12, v1, vcc
	global_load_dwordx4 v[6:9], v[46:47], off
	s_waitcnt vmcnt(0)
	buffer_store_dword v6, off, s[36:39], 0 offset:952 ; 4-byte Folded Spill
	s_nop 0
	buffer_store_dword v7, off, s[36:39], 0 offset:956 ; 4-byte Folded Spill
	buffer_store_dword v8, off, s[36:39], 0 offset:960 ; 4-byte Folded Spill
	;; [unrolled: 1-line block ×4, first 2 shown]
	s_nop 0
	buffer_store_dword v47, off, s[36:39], 0 offset:1116 ; 4-byte Folded Spill
	buffer_load_dword v0, off, s[36:39], 0 offset:144 ; 4-byte Folded Reload
	buffer_load_dword v1, off, s[36:39], 0 offset:148 ; 4-byte Folded Reload
	v_add_f64 v[12:13], v[6:7], -v[20:21]
	s_waitcnt vmcnt(0)
	v_div_fixup_f64 v[0:1], v[0:1], v[56:57], 1.0
	buffer_store_dword v0, off, s[36:39], 0 offset:396 ; 4-byte Folded Spill
	s_nop 0
	buffer_store_dword v1, off, s[36:39], 0 offset:400 ; 4-byte Folded Spill
	v_fma_f64 v[2:3], v[12:13], v[4:5], v[2:3]
	buffer_load_dword v4, off, s[36:39], 0 offset:716 ; 4-byte Folded Reload
	buffer_load_dword v5, off, s[36:39], 0 offset:720 ; 4-byte Folded Reload
	;; [unrolled: 1-line block ×4, first 2 shown]
	v_mul_f64 v[2:3], v[2:3], s[0:1]
	s_waitcnt vmcnt(2)
	v_mul_f64 v[4:5], v[4:5], s[0:1]
	s_waitcnt vmcnt(0)
	v_div_fixup_f64 v[8:9], v[6:7], v[14:15], 1.0
	buffer_store_dword v8, off, s[36:39], 0 offset:144 ; 4-byte Folded Spill
	s_nop 0
	buffer_store_dword v9, off, s[36:39], 0 offset:148 ; 4-byte Folded Spill
	buffer_load_dword v6, off, s[36:39], 0 offset:748 ; 4-byte Folded Reload
	buffer_load_dword v7, off, s[36:39], 0 offset:752 ; 4-byte Folded Reload
	v_fma_f64 v[4:5], v[0:1], v[4:5], 0
	s_waitcnt vmcnt(0)
	v_mul_f64 v[6:7], v[6:7], s[0:1]
	v_fma_f64 v[4:5], v[8:9], v[6:7], v[4:5]
	v_mul_f64 v[6:7], v[8:9], v[0:1]
	v_fma_f64 v[0:1], v[6:7], v[2:3], v[4:5]
	buffer_store_dword v0, off, s[36:39], 0 offset:764 ; 4-byte Folded Spill
	s_nop 0
	buffer_store_dword v1, off, s[36:39], 0 offset:768 ; 4-byte Folded Spill
	v_mov_b32_e32 v2, s17
	v_add_co_u32_e32 v0, vcc, s16, v28
	v_addc_co_u32_e32 v1, vcc, v2, v29, vcc
	v_mov_b32_e32 v3, s17
	v_add_co_u32_e32 v2, vcc, s16, v36
	v_mov_b32_e32 v41, v1
	v_addc_co_u32_e32 v3, vcc, v3, v37, vcc
	v_mov_b32_e32 v40, v0
	v_mov_b32_e32 v4, s17
	v_add_co_u32_e32 v0, vcc, s16, v24
	v_addc_co_u32_e32 v1, vcc, v4, v25, vcc
	v_mov_b32_e32 v39, v1
	v_mov_b32_e32 v38, v0
	buffer_load_dword v0, off, s[36:39], 0 offset:608 ; 4-byte Folded Reload
	buffer_load_dword v1, off, s[36:39], 0 offset:612 ; 4-byte Folded Reload
	s_waitcnt vmcnt(0)
	v_add_f64 v[6:7], v[10:11], v[0:1]
	buffer_load_dword v0, off, s[36:39], 0 offset:64 ; 4-byte Folded Reload
	buffer_load_dword v1, off, s[36:39], 0 offset:68 ; 4-byte Folded Reload
	;; [unrolled: 1-line block ×4, first 2 shown]
	v_mul_f64 v[10:11], v[6:7], v[60:61]
	s_waitcnt vmcnt(0)
	v_add_f64 v[8:9], v[4:5], v[0:1]
	buffer_load_dword v0, off, s[36:39], 0 offset:72 ; 4-byte Folded Reload
	buffer_load_dword v1, off, s[36:39], 0 offset:76 ; 4-byte Folded Reload
	s_waitcnt vmcnt(0)
	v_mul_f64 v[8:9], v[8:9], v[0:1]
	buffer_load_dword v0, off, s[36:39], 0 offset:48 ; 4-byte Folded Reload
	buffer_load_dword v1, off, s[36:39], 0 offset:52 ; 4-byte Folded Reload
	;; [unrolled: 1-line block ×4, first 2 shown]
	s_waitcnt vmcnt(0)
	v_add_f64 v[6:7], v[4:5], v[0:1]
	buffer_load_dword v0, off, s[36:39], 0 offset:56 ; 4-byte Folded Reload
	buffer_load_dword v1, off, s[36:39], 0 offset:60 ; 4-byte Folded Reload
	s_waitcnt vmcnt(0)
	v_mul_f64 v[12:13], v[6:7], v[0:1]
	buffer_load_dword v0, off, s[36:39], 0 offset:32 ; 4-byte Folded Reload
	buffer_load_dword v1, off, s[36:39], 0 offset:36 ; 4-byte Folded Reload
	;; [unrolled: 1-line block ×4, first 2 shown]
	s_waitcnt vmcnt(0)
	v_add_f64 v[6:7], v[4:5], v[0:1]
	buffer_load_dword v0, off, s[36:39], 0 offset:40 ; 4-byte Folded Reload
	buffer_load_dword v1, off, s[36:39], 0 offset:44 ; 4-byte Folded Reload
	v_mov_b32_e32 v4, v22
	v_mov_b32_e32 v5, v23
	buffer_load_dword v62, off, s[36:39], 0 offset:136 ; 4-byte Folded Reload
	buffer_load_dword v63, off, s[36:39], 0 offset:140 ; 4-byte Folded Reload
	;; [unrolled: 1-line block ×6, first 2 shown]
	s_waitcnt vmcnt(6)
	v_mul_f64 v[14:15], v[6:7], v[0:1]
	buffer_load_dword v0, off, s[36:39], 0 offset:128 ; 4-byte Folded Reload
	buffer_load_dword v1, off, s[36:39], 0 offset:132 ; 4-byte Folded Reload
	s_nop 0
	buffer_store_dword v4, off, s[36:39], 0 offset:444 ; 4-byte Folded Spill
	s_nop 0
	buffer_store_dword v5, off, s[36:39], 0 offset:448 ; 4-byte Folded Spill
	global_load_dwordx2 v[2:3], v[2:3], off
	s_nop 0
	global_load_dwordx4 v[20:23], v[38:39], off
	s_waitcnt vmcnt(0)
	buffer_store_dword v20, off, s[36:39], 0 offset:968 ; 4-byte Folded Spill
	s_nop 0
	buffer_store_dword v21, off, s[36:39], 0 offset:972 ; 4-byte Folded Spill
	buffer_store_dword v22, off, s[36:39], 0 offset:976 ; 4-byte Folded Spill
	;; [unrolled: 1-line block ×4, first 2 shown]
	s_nop 0
	buffer_store_dword v39, off, s[36:39], 0 offset:1044 ; 4-byte Folded Spill
	v_mul_f64 v[6:7], v[12:13], v[62:63]
	v_mul_f64 v[16:17], v[10:11], v[34:35]
	v_fma_f64 v[24:25], v[8:9], v[0:1], v[6:7]
	v_fma_f64 v[28:29], v[14:15], v[4:5], v[16:17]
	;; [unrolled: 1-line block ×3, first 2 shown]
	v_add_co_u32_e32 v0, vcc, s16, v42
	v_fma_f64 v[24:25], v[28:29], s[2:3], v[24:25]
	v_add_f64 v[28:29], v[20:21], -v[2:3]
	global_load_dwordx4 v[20:23], v[40:41], off
	s_waitcnt vmcnt(0)
	buffer_store_dword v20, off, s[36:39], 0 offset:984 ; 4-byte Folded Spill
	s_nop 0
	buffer_store_dword v21, off, s[36:39], 0 offset:988 ; 4-byte Folded Spill
	buffer_store_dword v22, off, s[36:39], 0 offset:992 ; 4-byte Folded Spill
	;; [unrolled: 1-line block ×4, first 2 shown]
	s_nop 0
	buffer_store_dword v41, off, s[36:39], 0 offset:1052 ; 4-byte Folded Spill
	buffer_store_dword v49, off, s[36:39], 0 offset:460 ; 4-byte Folded Spill
	s_nop 0
	buffer_store_dword v50, off, s[36:39], 0 offset:464 ; 4-byte Folded Spill
	v_mul_f64 v[24:25], v[24:25], v[28:29]
	v_mul_f64 v[28:29], v[14:15], v[4:5]
	v_mov_b32_e32 v4, s17
	v_addc_co_u32_e32 v1, vcc, v4, v43, vcc
	v_add_co_u32_e32 v18, vcc, s16, v18
	v_addc_co_u32_e32 v19, vcc, v4, v19, vcc
	v_fma_f64 v[34:35], v[34:35], s[4:5], v[28:29]
	v_mov_b32_e32 v43, v19
	v_mov_b32_e32 v42, v18
	v_add_f64 v[36:37], v[20:21], -v[2:3]
	global_load_dwordx4 v[20:23], v[0:1], off
	s_waitcnt vmcnt(0)
	buffer_store_dword v20, off, s[36:39], 0 offset:1008 ; 4-byte Folded Spill
	s_nop 0
	buffer_store_dword v21, off, s[36:39], 0 offset:1012 ; 4-byte Folded Spill
	buffer_store_dword v22, off, s[36:39], 0 offset:1016 ; 4-byte Folded Spill
	;; [unrolled: 1-line block ×3, first 2 shown]
	v_fma_f64 v[24:25], v[34:35], v[36:37], v[24:25]
	v_mov_b32_e32 v37, v1
	v_mov_b32_e32 v36, v0
	v_fma_f64 v[0:1], v[26:27], v[49:50], v[16:17]
	buffer_store_dword v36, off, s[36:39], 0 offset:1056 ; 4-byte Folded Spill
	s_nop 0
	buffer_store_dword v37, off, s[36:39], 0 offset:1060 ; 4-byte Folded Spill
	v_fma_f64 v[28:29], v[26:27], v[49:50], v[28:29]
	v_fma_f64 v[34:35], v[12:13], v[62:63], v[16:17]
	;; [unrolled: 1-line block ×3, first 2 shown]
	global_load_dwordx4 v[4:7], v[18:19], off
	s_waitcnt vmcnt(0)
	buffer_store_dword v4, off, s[36:39], 0 offset:592 ; 4-byte Folded Spill
	s_nop 0
	buffer_store_dword v5, off, s[36:39], 0 offset:596 ; 4-byte Folded Spill
	buffer_store_dword v6, off, s[36:39], 0 offset:600 ; 4-byte Folded Spill
	;; [unrolled: 1-line block ×3, first 2 shown]
	v_fma_f64 v[28:29], v[34:35], s[2:3], v[28:29]
	v_add_f64 v[34:35], v[20:21], -v[2:3]
	buffer_store_dword v42, off, s[36:39], 0 offset:608 ; 4-byte Folded Spill
	s_nop 0
	buffer_store_dword v43, off, s[36:39], 0 offset:612 ; 4-byte Folded Spill
	v_fma_f64 v[24:25], v[28:29], v[34:35], v[24:25]
	v_add_f64 v[2:3], v[4:5], -v[2:3]
	v_fma_f64 v[24:25], v[0:1], v[2:3], v[24:25]
	buffer_load_dword v1, off, s[36:39], 0 offset:772 ; 4-byte Folded Reload
	buffer_load_dword v2, off, s[36:39], 0 offset:776 ; 4-byte Folded Reload
	v_mov_b32_e32 v0, s17
	s_waitcnt vmcnt(1)
	v_add_co_u32_e32 v1, vcc, s16, v1
	s_waitcnt vmcnt(0)
	v_addc_co_u32_e32 v2, vcc, v0, v2, vcc
	v_mov_b32_e32 v35, v2
	v_mov_b32_e32 v34, v1
	buffer_store_dword v34, off, s[36:39], 0 offset:740 ; 4-byte Folded Spill
	s_nop 0
	buffer_store_dword v35, off, s[36:39], 0 offset:744 ; 4-byte Folded Spill
	buffer_load_dword v3, off, s[36:39], 0 offset:780 ; 4-byte Folded Reload
	buffer_load_dword v4, off, s[36:39], 0 offset:784 ; 4-byte Folded Reload
	v_mov_b32_e32 v1, s17
	v_add_co_u32_e32 v0, vcc, s16, v30
	v_addc_co_u32_e32 v1, vcc, v1, v31, vcc
	v_mov_b32_e32 v2, s17
	s_waitcnt vmcnt(1)
	v_add_co_u32_e32 v28, vcc, s16, v3
	s_waitcnt vmcnt(0)
	v_addc_co_u32_e32 v29, vcc, v2, v4, vcc
	buffer_store_dword v28, off, s[36:39], 0 offset:780 ; 4-byte Folded Spill
	s_nop 0
	buffer_store_dword v29, off, s[36:39], 0 offset:784 ; 4-byte Folded Spill
	buffer_load_dword v2, off, s[36:39], 0 offset:168 ; 4-byte Folded Reload
	buffer_load_dword v3, off, s[36:39], 0 offset:172 ; 4-byte Folded Reload
	;; [unrolled: 1-line block ×10, first 2 shown]
	s_nop 0
	global_load_dwordx2 v[0:1], v[0:1], off
	s_nop 0
	global_load_dwordx4 v[28:31], v[28:29], off
	s_waitcnt vmcnt(10)
	v_mul_f64 v[2:3], v[10:11], v[2:3]
	s_waitcnt vmcnt(0)
	buffer_store_dword v28, off, s[36:39], 0 offset:716 ; 4-byte Folded Spill
	s_nop 0
	buffer_store_dword v29, off, s[36:39], 0 offset:720 ; 4-byte Folded Spill
	buffer_store_dword v30, off, s[36:39], 0 offset:724 ; 4-byte Folded Spill
	buffer_store_dword v31, off, s[36:39], 0 offset:728 ; 4-byte Folded Spill
	v_mul_f64 v[10:11], v[12:13], v[62:63]
	v_fma_f64 v[18:19], v[14:15], v[6:7], v[2:3]
	v_mul_f64 v[14:15], v[14:15], v[6:7]
	v_fma_f64 v[12:13], v[12:13], v[62:63], v[2:3]
	v_fma_f64 v[16:17], v[8:9], v[4:5], v[10:11]
	;; [unrolled: 1-line block ×3, first 2 shown]
	global_load_dwordx4 v[4:7], v[34:35], off
	s_waitcnt vmcnt(0)
	buffer_store_dword v4, off, s[36:39], 0 offset:748 ; 4-byte Folded Spill
	s_nop 0
	buffer_store_dword v5, off, s[36:39], 0 offset:752 ; 4-byte Folded Spill
	buffer_store_dword v6, off, s[36:39], 0 offset:756 ; 4-byte Folded Spill
	;; [unrolled: 1-line block ×3, first 2 shown]
	v_fma_f64 v[16:17], v[18:19], s[2:3], v[16:17]
	v_add_f64 v[18:19], v[28:29], -v[0:1]
	v_fma_f64 v[8:9], v[8:9], s[4:5], v[14:15]
	v_mul_f64 v[16:17], v[16:17], v[18:19]
	v_add_f64 v[18:19], v[4:5], -v[0:1]
	buffer_load_dword v5, off, s[36:39], 0 offset:788 ; 4-byte Folded Reload
	buffer_load_dword v6, off, s[36:39], 0 offset:792 ; 4-byte Folded Reload
	v_mov_b32_e32 v4, s17
	v_fma_f64 v[8:9], v[8:9], v[18:19], v[16:17]
	s_waitcnt vmcnt(1)
	v_add_co_u32_e32 v5, vcc, s16, v5
	s_waitcnt vmcnt(0)
	v_addc_co_u32_e32 v6, vcc, v4, v6, vcc
	buffer_store_dword v5, off, s[36:39], 0 offset:788 ; 4-byte Folded Spill
	s_nop 0
	buffer_store_dword v6, off, s[36:39], 0 offset:792 ; 4-byte Folded Spill
	buffer_store_dword v53, off, s[36:39], 0 offset:436 ; 4-byte Folded Spill
	s_nop 0
	buffer_store_dword v54, off, s[36:39], 0 offset:440 ; 4-byte Folded Spill
	global_load_dwordx4 v[4:7], v[5:6], off
	s_waitcnt vmcnt(0)
	buffer_store_dword v4, off, s[36:39], 0 offset:796 ; 4-byte Folded Spill
	s_nop 0
	buffer_store_dword v5, off, s[36:39], 0 offset:800 ; 4-byte Folded Spill
	buffer_store_dword v6, off, s[36:39], 0 offset:804 ; 4-byte Folded Spill
	;; [unrolled: 1-line block ×3, first 2 shown]
	v_fma_f64 v[14:15], v[26:27], v[53:54], v[14:15]
	v_fma_f64 v[2:3], v[26:27], v[53:54], v[2:3]
	;; [unrolled: 1-line block ×4, first 2 shown]
	s_mov_b32 s3, 0x3fe55555
	s_mov_b32 s2, s0
	s_mul_i32 s4, s6, 3
	v_add_f64 v[14:15], v[4:5], -v[0:1]
	v_mov_b32_e32 v4, s17
	v_add_co_u32_e32 v5, vcc, s16, v32
	v_addc_co_u32_e32 v6, vcc, v4, v33, vcc
	buffer_store_dword v5, off, s[36:39], 0 offset:812 ; 4-byte Folded Spill
	s_nop 0
	buffer_store_dword v6, off, s[36:39], 0 offset:816 ; 4-byte Folded Spill
	v_fma_f64 v[8:9], v[12:13], v[14:15], v[8:9]
	global_load_dwordx4 v[4:7], v[5:6], off
	s_waitcnt vmcnt(0)
	buffer_store_dword v4, off, s[36:39], 0 offset:820 ; 4-byte Folded Spill
	s_nop 0
	buffer_store_dword v5, off, s[36:39], 0 offset:824 ; 4-byte Folded Spill
	buffer_store_dword v6, off, s[36:39], 0 offset:828 ; 4-byte Folded Spill
	;; [unrolled: 1-line block ×3, first 2 shown]
	v_add_f64 v[0:1], v[4:5], -v[0:1]
	v_fma_f64 v[0:1], v[2:3], v[0:1], v[8:9]
	buffer_load_dword v2, off, s[36:39], 0 offset:208 ; 4-byte Folded Reload
	buffer_load_dword v3, off, s[36:39], 0 offset:212 ; 4-byte Folded Reload
	v_mul_f64 v[0:1], v[0:1], s[0:1]
	s_waitcnt vmcnt(0)
	global_load_dwordx4 v[10:13], v[2:3], off offset:-16
	s_nop 0
	buffer_load_dword v2, off, s[36:39], 0 offset:492 ; 4-byte Folded Reload
	buffer_load_dword v3, off, s[36:39], 0 offset:496 ; 4-byte Folded Reload
	s_waitcnt vmcnt(0)
	v_mul_f64 v[8:9], v[2:3], v[10:11]
	buffer_load_dword v2, off, s[36:39], 0 offset:500 ; 4-byte Folded Reload
	buffer_load_dword v3, off, s[36:39], 0 offset:504 ; 4-byte Folded Reload
	s_waitcnt vmcnt(0)
	v_mul_f64 v[10:11], v[2:3], v[12:13]
	buffer_load_dword v2, off, s[36:39], 0 offset:764 ; 4-byte Folded Reload
	buffer_load_dword v3, off, s[36:39], 0 offset:768 ; 4-byte Folded Reload
	s_waitcnt vmcnt(0)
	v_fma_f64 v[2:3], v[24:25], s[0:1], v[2:3]
	buffer_store_dword v2, off, s[36:39], 0 offset:492 ; 4-byte Folded Spill
	s_nop 0
	buffer_store_dword v3, off, s[36:39], 0 offset:496 ; 4-byte Folded Spill
	buffer_store_dword v0, off, s[36:39], 0 offset:500 ; 4-byte Folded Spill
	s_nop 0
	buffer_store_dword v1, off, s[36:39], 0 offset:504 ; 4-byte Folded Spill
	buffer_load_dword v0, off, s[36:39], 0 offset:256 ; 4-byte Folded Reload
	s_nop 0
	buffer_load_dword v1, off, s[36:39], 0 offset:260 ; 4-byte Folded Reload
	s_waitcnt vmcnt(0)
	global_load_dwordx4 v[20:23], v[0:1], off offset:-16
	global_load_dwordx4 v[14:17], v[46:47], off offset:-16
	buffer_load_dword v2, off, s[36:39], 0 offset:264 ; 4-byte Folded Reload
	buffer_load_dword v3, off, s[36:39], 0 offset:268 ; 4-byte Folded Reload
	s_mov_b32 s1, 0x3fb55555
	s_waitcnt vmcnt(2)
	v_add_f64 v[0:1], v[14:15], -v[20:21]
	s_waitcnt vmcnt(0)
	global_load_dwordx4 v[24:27], v[2:3], off offset:-16
	s_nop 0
	buffer_load_dword v2, off, s[36:39], 0 offset:248 ; 4-byte Folded Reload
	buffer_load_dword v3, off, s[36:39], 0 offset:252 ; 4-byte Folded Reload
	v_mul_f64 v[0:1], v[0:1], s[0:1]
	s_waitcnt vmcnt(0)
	global_load_dwordx4 v[28:31], v[2:3], off offset:-16
	s_waitcnt vmcnt(0)
	v_add_f64 v[2:3], v[24:25], -v[28:29]
	v_fma_f64 v[6:7], v[2:3], s[2:3], -v[0:1]
	global_load_dwordx4 v[2:5], v[40:41], off offset:-16
	global_load_dwordx4 v[32:35], v[42:43], off offset:-16
	s_waitcnt vmcnt(1)
	v_mov_b32_e32 v49, v5
	v_mov_b32_e32 v48, v4
	;; [unrolled: 1-line block ×4, first 2 shown]
	buffer_store_dword v46, off, s[36:39], 0 offset:1096 ; 4-byte Folded Spill
	s_nop 0
	buffer_store_dword v47, off, s[36:39], 0 offset:1100 ; 4-byte Folded Spill
	buffer_store_dword v48, off, s[36:39], 0 offset:1104 ; 4-byte Folded Spill
	;; [unrolled: 1-line block ×3, first 2 shown]
	global_load_dwordx4 v[38:41], v[38:39], off offset:-16
	s_nop 0
	global_load_dwordx4 v[42:45], v[36:37], off offset:-16
	s_waitcnt vmcnt(6)
	v_add_f64 v[0:1], v[32:33], -v[2:3]
	v_mul_f64 v[0:1], v[0:1], s[0:1]
	s_waitcnt vmcnt(0)
	v_add_f64 v[2:3], v[42:43], -v[38:39]
	v_mov_b32_e32 v47, v45
	v_mov_b32_e32 v46, v44
	v_mov_b32_e32 v45, v43
	v_mov_b32_e32 v44, v42
	buffer_store_dword v44, off, s[36:39], 0 offset:1080 ; 4-byte Folded Spill
	s_nop 0
	buffer_store_dword v45, off, s[36:39], 0 offset:1084 ; 4-byte Folded Spill
	buffer_store_dword v46, off, s[36:39], 0 offset:1088 ; 4-byte Folded Spill
	;; [unrolled: 1-line block ×3, first 2 shown]
	v_mov_b32_e32 v45, v41
	v_mov_b32_e32 v44, v40
	v_mov_b32_e32 v43, v39
	v_mov_b32_e32 v42, v38
	buffer_store_dword v42, off, s[36:39], 0 offset:1064 ; 4-byte Folded Spill
	s_nop 0
	buffer_store_dword v43, off, s[36:39], 0 offset:1068 ; 4-byte Folded Spill
	buffer_store_dword v44, off, s[36:39], 0 offset:1072 ; 4-byte Folded Spill
	;; [unrolled: 1-line block ×3, first 2 shown]
	v_fma_f64 v[4:5], v[2:3], s[2:3], -v[0:1]
	buffer_load_dword v0, off, s[36:39], 0 offset:184 ; 4-byte Folded Reload
	buffer_load_dword v1, off, s[36:39], 0 offset:188 ; 4-byte Folded Reload
	s_waitcnt vmcnt(0)
	global_load_dwordx4 v[0:3], v[0:1], off offset:-16
	s_nop 0
	buffer_load_dword v12, off, s[36:39], 0 offset:660 ; 4-byte Folded Reload
	buffer_load_dword v13, off, s[36:39], 0 offset:664 ; 4-byte Folded Reload
	;; [unrolled: 1-line block ×6, first 2 shown]
	s_nop 0
	buffer_store_dword v56, off, s[36:39], 0 offset:192 ; 4-byte Folded Spill
	s_nop 0
	buffer_store_dword v57, off, s[36:39], 0 offset:196 ; 4-byte Folded Spill
	buffer_store_dword v58, off, s[36:39], 0 offset:200 ; 4-byte Folded Spill
	;; [unrolled: 1-line block ×3, first 2 shown]
	s_waitcnt vmcnt(8)
	v_mul_f64 v[0:1], v[12:13], v[0:1]
	s_waitcnt vmcnt(6)
	v_mul_f64 v[0:1], v[38:39], v[0:1]
	v_mul_f64 v[0:1], v[4:5], v[0:1]
	;; [unrolled: 1-line block ×5, first 2 shown]
	buffer_load_dword v6, off, s[36:39], 0 offset:560 ; 4-byte Folded Reload
	buffer_load_dword v7, off, s[36:39], 0 offset:564 ; 4-byte Folded Reload
	;; [unrolled: 1-line block ×4, first 2 shown]
	s_waitcnt vmcnt(2)
	v_fma_f64 v[0:1], v[6:7], v[4:5], v[0:1]
	buffer_store_dword v0, off, s[36:39], 0 offset:764 ; 4-byte Folded Spill
	s_nop 0
	buffer_store_dword v1, off, s[36:39], 0 offset:768 ; 4-byte Folded Spill
	buffer_load_dword v18, off, s[36:39], 0 offset:652 ; 4-byte Folded Reload
	buffer_load_dword v19, off, s[36:39], 0 offset:656 ; 4-byte Folded Reload
	v_add_f64 v[0:1], v[16:17], -v[22:23]
	v_add_f64 v[4:5], v[26:27], -v[30:31]
	;; [unrolled: 1-line block ×3, first 2 shown]
	v_mul_f64 v[0:1], v[0:1], s[0:1]
	v_fma_f64 v[0:1], v[4:5], s[2:3], -v[0:1]
	v_add_f64 v[4:5], v[34:35], -v[48:49]
	v_mul_f64 v[4:5], v[4:5], s[0:1]
	v_fma_f64 v[4:5], v[6:7], s[2:3], -v[4:5]
	v_mov_b32_e32 v7, s17
	s_waitcnt vmcnt(0)
	v_mul_f64 v[2:3], v[18:19], v[2:3]
	v_mul_f64 v[2:3], v[40:41], v[2:3]
	;; [unrolled: 1-line block ×4, first 2 shown]
	v_mov_b32_e32 v10, s17
	v_mov_b32_e32 v40, s17
	v_mul_f64 v[2:3], v[56:57], v[2:3]
	v_mul_f64 v[0:1], v[0:1], v[4:5]
	v_mov_b32_e32 v4, s17
	v_fma_f64 v[0:1], v[8:9], v[0:1], v[2:3]
	buffer_store_dword v0, off, s[36:39], 0 offset:772 ; 4-byte Folded Spill
	s_nop 0
	buffer_store_dword v1, off, s[36:39], 0 offset:776 ; 4-byte Folded Spill
	buffer_load_dword v0, off, s[36:39], 0 offset:844 ; 4-byte Folded Reload
	s_nop 0
	buffer_load_dword v5, off, s[36:39], 0 offset:836 ; 4-byte Folded Reload
	v_mov_b32_e32 v2, s17
	buffer_load_dword v41, off, s[36:39], 0 offset:576 ; 4-byte Folded Reload
	s_waitcnt vmcnt(2)
	v_add_u32_e32 v6, s9, v0
	buffer_load_dword v0, off, s[36:39], 0 offset:552 ; 4-byte Folded Reload
	s_waitcnt vmcnt(2)
	v_mov_b32_e32 v8, v5
	s_waitcnt vmcnt(0)
	v_add3_u32 v36, v0, s7, v6
	v_add_u32_e32 v0, v36, v5
	v_ashrrev_i32_e32 v1, 31, v0
	v_lshlrev_b64 v[0:1], 3, v[0:1]
	v_add_co_u32_e32 v0, vcc, s16, v0
	v_addc_co_u32_e32 v1, vcc, v2, v1, vcc
	buffer_load_dword v2, off, s[36:39], 0 offset:528 ; 4-byte Folded Reload
	s_waitcnt vmcnt(0)
	v_add3_u32 v37, v2, s7, v6
	v_add_u32_e32 v2, v37, v5
	v_ashrrev_i32_e32 v3, 31, v2
	v_lshlrev_b64 v[2:3], 3, v[2:3]
	v_add_co_u32_e32 v2, vcc, s16, v2
	v_addc_co_u32_e32 v3, vcc, v4, v3, vcc
	buffer_load_dword v4, off, s[36:39], 0 offset:520 ; 4-byte Folded Reload
	s_waitcnt vmcnt(0)
	v_add3_u32 v38, v4, s7, v6
	v_add_u32_e32 v4, v38, v5
	v_ashrrev_i32_e32 v5, 31, v4
	v_lshlrev_b64 v[4:5], 3, v[4:5]
	v_add_u32_e32 v60, v38, v41
	v_add_co_u32_e32 v4, vcc, s16, v4
	v_addc_co_u32_e32 v5, vcc, v7, v5, vcc
	buffer_load_dword v7, off, s[36:39], 0 offset:508 ; 4-byte Folded Reload
	v_ashrrev_i32_e32 v61, 31, v60
	v_lshlrev_b64 v[60:61], 3, v[60:61]
	s_waitcnt vmcnt(0)
	v_add3_u32 v39, v7, s7, v6
	v_add_u32_e32 v6, v39, v8
	v_ashrrev_i32_e32 v7, 31, v6
	v_lshlrev_b64 v[6:7], 3, v[6:7]
	v_mov_b32_e32 v8, s17
	v_add_co_u32_e32 v6, vcc, s16, v6
	v_addc_co_u32_e32 v7, vcc, v8, v7, vcc
	v_add_u32_e32 v8, v36, v41
	v_ashrrev_i32_e32 v9, 31, v8
	v_lshlrev_b64 v[8:9], 3, v[8:9]
	v_add_u32_e32 v62, v39, v41
	v_add_co_u32_e32 v8, vcc, s16, v8
	v_addc_co_u32_e32 v9, vcc, v10, v9, vcc
	v_add_u32_e32 v10, v37, v41
	v_ashrrev_i32_e32 v11, 31, v10
	v_lshlrev_b64 v[10:11], 3, v[10:11]
	v_ashrrev_i32_e32 v63, 31, v62
	v_add_co_u32_e32 v10, vcc, s16, v10
	v_addc_co_u32_e32 v11, vcc, v40, v11, vcc
	v_add_co_u32_e32 v60, vcc, s16, v60
	v_lshlrev_b64 v[62:63], 3, v[62:63]
	v_addc_co_u32_e32 v61, vcc, v40, v61, vcc
	v_add_co_u32_e32 v62, vcc, s16, v62
	v_addc_co_u32_e32 v63, vcc, v40, v63, vcc
	global_load_dwordx2 v[8:9], v[8:9], off
	s_nop 0
	global_load_dwordx2 v[10:11], v[10:11], off
	s_nop 0
	;; [unrolled: 2-line block ×8, first 2 shown]
	buffer_load_dword v40, off, s[36:39], 0 offset:628 ; 4-byte Folded Reload
	buffer_load_dword v41, off, s[36:39], 0 offset:632 ; 4-byte Folded Reload
	s_waitcnt vmcnt(8)
	v_add_f64 v[52:53], v[8:9], -v[10:11]
	s_waitcnt vmcnt(6)
	v_add_f64 v[54:55], v[60:61], -v[62:63]
	;; [unrolled: 2-line block ×3, first 2 shown]
	v_mul_f64 v[52:53], v[52:53], s[0:1]
	v_fma_f64 v[52:53], v[54:55], s[2:3], -v[52:53]
	v_add_f64 v[54:55], v[0:1], -v[2:3]
	v_add_f64 v[0:1], v[0:1], -v[8:9]
	;; [unrolled: 1-line block ×3, first 2 shown]
	s_waitcnt vmcnt(0)
	v_mul_f64 v[52:53], v[40:41], v[52:53]
	buffer_load_dword v40, off, s[36:39], 0 offset:732 ; 4-byte Folded Reload
	buffer_load_dword v41, off, s[36:39], 0 offset:736 ; 4-byte Folded Reload
	v_mul_f64 v[54:55], v[54:55], s[0:1]
	v_mul_f64 v[0:1], v[0:1], s[0:1]
	;; [unrolled: 1-line block ×3, first 2 shown]
	v_fma_f64 v[46:47], v[46:47], s[2:3], -v[54:55]
	s_waitcnt vmcnt(0)
	v_fma_f64 v[40:41], v[40:41], v[46:47], -v[52:53]
	buffer_store_dword v40, off, s[36:39], 0 offset:508 ; 4-byte Folded Spill
	s_nop 0
	buffer_store_dword v41, off, s[36:39], 0 offset:512 ; 4-byte Folded Spill
	buffer_load_dword v41, off, s[36:39], 0 offset:644 ; 4-byte Folded Reload
	s_nop 0
	buffer_load_dword v48, off, s[36:39], 0 offset:536 ; 4-byte Folded Reload
	v_mov_b32_e32 v40, s17
	s_waitcnt vmcnt(1)
	v_add_u32_e32 v46, v36, v41
	v_ashrrev_i32_e32 v47, 31, v46
	v_lshlrev_b64 v[46:47], 3, v[46:47]
	v_add_u32_e32 v52, v37, v41
	v_ashrrev_i32_e32 v53, 31, v52
	v_add_co_u32_e32 v46, vcc, s16, v46
	v_lshlrev_b64 v[52:53], 3, v[52:53]
	v_add_u32_e32 v54, v38, v41
	v_addc_co_u32_e32 v47, vcc, v40, v47, vcc
	v_ashrrev_i32_e32 v55, 31, v54
	v_add_co_u32_e32 v52, vcc, s16, v52
	v_lshlrev_b64 v[54:55], 3, v[54:55]
	v_add_u32_e32 v42, v39, v41
	v_addc_co_u32_e32 v53, vcc, v40, v53, vcc
	v_ashrrev_i32_e32 v43, 31, v42
	v_add_co_u32_e32 v54, vcc, s16, v54
	v_lshlrev_b64 v[42:43], 3, v[42:43]
	v_addc_co_u32_e32 v55, vcc, v40, v55, vcc
	s_waitcnt vmcnt(0)
	v_add_u32_e32 v44, v36, v48
	v_add_co_u32_e32 v42, vcc, s16, v42
	v_ashrrev_i32_e32 v45, 31, v44
	v_addc_co_u32_e32 v43, vcc, v40, v43, vcc
	v_lshlrev_b64 v[44:45], 3, v[44:45]
	v_add_u32_e32 v40, v37, v48
	v_ashrrev_i32_e32 v41, 31, v40
	v_mov_b32_e32 v36, s17
	v_add_co_u32_e32 v44, vcc, s16, v44
	v_lshlrev_b64 v[40:41], 3, v[40:41]
	v_add_u32_e32 v56, v38, v48
	v_addc_co_u32_e32 v45, vcc, v36, v45, vcc
	v_ashrrev_i32_e32 v57, 31, v56
	v_add_co_u32_e32 v40, vcc, s16, v40
	v_lshlrev_b64 v[56:57], 3, v[56:57]
	v_add_u32_e32 v58, v39, v48
	v_addc_co_u32_e32 v41, vcc, v36, v41, vcc
	v_ashrrev_i32_e32 v59, 31, v58
	v_add_co_u32_e32 v56, vcc, s16, v56
	v_lshlrev_b64 v[58:59], 3, v[58:59]
	v_addc_co_u32_e32 v57, vcc, v36, v57, vcc
	v_add_co_u32_e32 v58, vcc, s16, v58
	v_addc_co_u32_e32 v59, vcc, v36, v59, vcc
	global_load_dwordx2 v[44:45], v[44:45], off
	s_nop 0
	global_load_dwordx2 v[40:41], v[40:41], off
	s_nop 0
	;; [unrolled: 2-line block ×3, first 2 shown]
	global_load_dwordx2 v[58:59], v[58:59], off
	s_waitcnt vmcnt(2)
	v_add_f64 v[48:49], v[44:45], -v[40:41]
	s_waitcnt vmcnt(0)
	v_add_f64 v[50:51], v[56:57], -v[58:59]
	v_mul_f64 v[48:49], v[48:49], s[0:1]
	v_fma_f64 v[48:49], v[50:51], s[2:3], -v[48:49]
	global_load_dwordx2 v[46:47], v[46:47], off
	s_nop 0
	global_load_dwordx2 v[50:51], v[52:53], off
	s_nop 0
	;; [unrolled: 2-line block ×4, first 2 shown]
	buffer_load_dword v38, off, s[36:39], 0 offset:584 ; 4-byte Folded Reload
	buffer_load_dword v39, off, s[36:39], 0 offset:588 ; 4-byte Folded Reload
	s_waitcnt vmcnt(5)
	v_add_f64 v[8:9], v[46:47], -v[44:45]
	s_waitcnt vmcnt(4)
	v_add_f64 v[54:55], v[46:47], -v[50:51]
	;; [unrolled: 2-line block ×3, first 2 shown]
	s_waitcnt vmcnt(0)
	v_mul_f64 v[38:39], v[38:39], v[48:49]
	buffer_load_dword v48, off, s[36:39], 0 offset:636 ; 4-byte Folded Reload
	buffer_load_dword v49, off, s[36:39], 0 offset:640 ; 4-byte Folded Reload
	v_fma_f64 v[0:1], v[8:9], s[2:3], -v[0:1]
	v_mul_f64 v[54:55], v[54:55], s[0:1]
	v_add_f64 v[8:9], v[50:51], -v[40:41]
	v_mov_b32_e32 v41, v19
	v_mov_b32_e32 v40, v18
	v_fma_f64 v[36:37], v[36:37], s[2:3], -v[54:55]
	v_fma_f64 v[2:3], v[8:9], s[2:3], -v[2:3]
	s_waitcnt vmcnt(0)
	v_fma_f64 v[36:37], v[48:49], v[36:37], -v[38:39]
	buffer_store_dword v36, off, s[36:39], 0 offset:536 ; 4-byte Folded Spill
	s_nop 0
	buffer_store_dword v37, off, s[36:39], 0 offset:540 ; 4-byte Folded Spill
	buffer_load_dword v44, off, s[36:39], 0 offset:152 ; 4-byte Folded Reload
	buffer_load_dword v45, off, s[36:39], 0 offset:156 ; 4-byte Folded Reload
	;; [unrolled: 1-line block ×8, first 2 shown]
	v_mov_b32_e32 v39, v13
	v_mov_b32_e32 v38, v12
	s_waitcnt vmcnt(6)
	v_mul_f64 v[8:9], v[12:13], v[44:45]
	v_mul_f64 v[8:9], v[44:45], v[8:9]
	;; [unrolled: 1-line block ×3, first 2 shown]
	s_waitcnt vmcnt(0)
	v_mul_f64 v[8:9], v[50:51], v[54:55]
	v_mul_f64 v[8:9], v[54:55], v[8:9]
	v_fma_f64 v[0:1], v[8:9], v[0:1], -v[2:3]
	buffer_store_dword v0, off, s[36:39], 0 offset:520 ; 4-byte Folded Spill
	s_nop 0
	buffer_store_dword v1, off, s[36:39], 0 offset:524 ; 4-byte Folded Spill
	v_add_f64 v[0:1], v[4:5], -v[60:61]
	v_add_f64 v[2:3], v[52:53], -v[56:57]
	;; [unrolled: 1-line block ×3, first 2 shown]
	v_mul_f64 v[0:1], v[0:1], s[0:1]
	v_mul_f64 v[4:5], v[4:5], s[0:1]
	v_fma_f64 v[0:1], v[2:3], s[2:3], -v[0:1]
	v_add_f64 v[2:3], v[42:43], -v[58:59]
	v_mov_b32_e32 v42, v44
	v_mov_b32_e32 v43, v45
	;; [unrolled: 1-line block ×4, first 2 shown]
	v_fma_f64 v[2:3], v[2:3], s[2:3], -v[4:5]
	v_mul_f64 v[4:5], v[18:19], v[46:47]
	v_mul_f64 v[4:5], v[46:47], v[4:5]
	;; [unrolled: 1-line block ×3, first 2 shown]
	buffer_load_dword v4, off, s[36:39], 0 offset:692 ; 4-byte Folded Reload
	buffer_load_dword v5, off, s[36:39], 0 offset:696 ; 4-byte Folded Reload
	;; [unrolled: 1-line block ×6, first 2 shown]
	s_waitcnt vmcnt(2)
	v_mov_b32_e32 v47, v7
	v_mov_b32_e32 v46, v6
	s_waitcnt vmcnt(0)
	v_mul_f64 v[4:5], v[48:49], v[46:47]
	v_mul_f64 v[4:5], v[46:47], v[4:5]
	v_fma_f64 v[0:1], v[4:5], v[0:1], -v[2:3]
	buffer_store_dword v0, off, s[36:39], 0 offset:528 ; 4-byte Folded Spill
	s_nop 0
	buffer_store_dword v1, off, s[36:39], 0 offset:532 ; 4-byte Folded Spill
	buffer_load_dword v0, off, s[36:39], 0 offset:544 ; 4-byte Folded Reload
	s_nop 0
	buffer_load_dword v1, off, s[36:39], 0 offset:548 ; 4-byte Folded Reload
	buffer_load_dword v2, off, s[36:39], 0 offset:1024 ; 4-byte Folded Reload
	;; [unrolled: 1-line block ×5, first 2 shown]
	s_waitcnt vmcnt(2)
	v_mov_b32_e32 v3, s23
	s_waitcnt vmcnt(0)
	v_mul_f64 v[0:1], v[0:1], v[4:5]
	buffer_load_dword v4, off, s[36:39], 0 offset:1000 ; 4-byte Folded Reload
	buffer_load_dword v5, off, s[36:39], 0 offset:1004 ; 4-byte Folded Reload
	;; [unrolled: 1-line block ×8, first 2 shown]
	v_mul_f64 v[0:1], v[46:47], v[0:1]
	s_waitcnt vmcnt(7)
	v_add_co_u32_e32 v2, vcc, s22, v4
	s_waitcnt vmcnt(6)
	v_addc_co_u32_e32 v3, vcc, v3, v5, vcc
	v_mov_b32_e32 v5, s23
	s_waitcnt vmcnt(5)
	v_add_co_u32_e32 v4, vcc, s22, v6
	s_waitcnt vmcnt(4)
	v_addc_co_u32_e32 v5, vcc, v5, v7, vcc
	v_mov_b32_e32 v7, s23
	;; [unrolled: 5-line block ×3, first 2 shown]
	s_waitcnt vmcnt(1)
	v_add_co_u32_e32 v8, vcc, s22, v10
	s_waitcnt vmcnt(0)
	v_addc_co_u32_e32 v9, vcc, v9, v11, vcc
	buffer_load_dword v10, off, s[36:39], 0 offset:1112 ; 4-byte Folded Reload
	buffer_load_dword v11, off, s[36:39], 0 offset:1116 ; 4-byte Folded Reload
	s_waitcnt vmcnt(0)
	global_load_dwordx2 v[10:11], v[10:11], off offset:16
	s_nop 0
	buffer_load_dword v56, off, s[36:39], 0 offset:952 ; 4-byte Folded Reload
	buffer_load_dword v57, off, s[36:39], 0 offset:956 ; 4-byte Folded Reload
	;; [unrolled: 1-line block ×4, first 2 shown]
	s_waitcnt vmcnt(4)
	v_add_f64 v[12:13], v[10:11], -v[14:15]
	s_waitcnt vmcnt(0)
	v_mov_b32_e32 v18, v58
	v_mov_b32_e32 v19, v59
	v_add_f64 v[14:15], v[18:19], -v[16:17]
	v_mul_f64 v[12:13], v[12:13], s[0:1]
	v_fma_f64 v[12:13], v[14:15], s[2:3], -v[12:13]
	buffer_load_dword v14, off, s[36:39], 0 offset:896 ; 4-byte Folded Reload
	buffer_load_dword v15, off, s[36:39], 0 offset:900 ; 4-byte Folded Reload
	;; [unrolled: 1-line block ×4, first 2 shown]
	s_waitcnt vmcnt(0)
	v_add_f64 v[14:15], v[18:19], -v[16:17]
	v_add_f64 v[18:19], v[16:17], -v[22:23]
	buffer_load_dword v16, off, s[36:39], 0 offset:256 ; 4-byte Folded Reload
	buffer_load_dword v17, off, s[36:39], 0 offset:260 ; 4-byte Folded Reload
	s_waitcnt vmcnt(0)
	global_load_dwordx2 v[36:37], v[16:17], off offset:16
	s_waitcnt vmcnt(0)
	v_add_f64 v[16:17], v[36:37], -v[20:21]
	global_load_dwordx2 v[20:21], v[2:3], off
	s_nop 0
	buffer_load_dword v2, off, s[36:39], 0 offset:920 ; 4-byte Folded Reload
	buffer_load_dword v3, off, s[36:39], 0 offset:924 ; 4-byte Folded Reload
	v_add_f64 v[10:11], v[10:11], -v[36:37]
	s_waitcnt vmcnt(2)
	v_mov_b32_e32 v61, v21
	v_mov_b32_e32 v60, v20
	buffer_store_dword v60, off, s[36:39], 0 offset:836 ; 4-byte Folded Spill
	s_nop 0
	buffer_store_dword v61, off, s[36:39], 0 offset:840 ; 4-byte Folded Spill
	global_load_dwordx2 v[4:5], v[4:5], off
	s_waitcnt vmcnt(3)
	v_mul_f64 v[2:3], v[2:3], v[20:21]
	s_waitcnt vmcnt(0)
	buffer_store_dword v4, off, s[36:39], 0 offset:628 ; 4-byte Folded Spill
	s_nop 0
	buffer_store_dword v5, off, s[36:39], 0 offset:632 ; 4-byte Folded Spill
	v_mul_f64 v[2:3], v[2:3], v[12:13]
	v_mul_f64 v[12:13], v[16:17], s[0:1]
	buffer_load_dword v16, off, s[36:39], 0 offset:848 ; 4-byte Folded Reload
	buffer_load_dword v17, off, s[36:39], 0 offset:852 ; 4-byte Folded Reload
	v_fma_f64 v[12:13], v[18:19], s[2:3], -v[12:13]
	s_waitcnt vmcnt(0)
	v_mul_f64 v[4:5], v[16:17], v[4:5]
	v_mul_f64 v[12:13], v[4:5], v[12:13]
	buffer_load_dword v4, off, s[36:39], 0 offset:264 ; 4-byte Folded Reload
	buffer_load_dword v5, off, s[36:39], 0 offset:268 ; 4-byte Folded Reload
	s_waitcnt vmcnt(0)
	global_load_dwordx2 v[16:17], v[4:5], off offset:16
	buffer_load_dword v20, off, s[36:39], 0 offset:928 ; 4-byte Folded Reload
	buffer_load_dword v21, off, s[36:39], 0 offset:932 ; 4-byte Folded Reload
	;; [unrolled: 1-line block ×4, first 2 shown]
	s_waitcnt vmcnt(4)
	v_add_f64 v[4:5], v[16:17], -v[24:25]
	s_waitcnt vmcnt(0)
	v_add_f64 v[18:19], v[22:23], -v[26:27]
	v_mul_f64 v[4:5], v[4:5], s[0:1]
	v_fma_f64 v[4:5], v[18:19], s[2:3], -v[4:5]
	buffer_load_dword v18, off, s[36:39], 0 offset:872 ; 4-byte Folded Reload
	buffer_load_dword v19, off, s[36:39], 0 offset:876 ; 4-byte Folded Reload
	;; [unrolled: 1-line block ×4, first 2 shown]
	s_waitcnt vmcnt(0)
	v_add_f64 v[18:19], v[22:23], -v[20:21]
	buffer_load_dword v22, off, s[36:39], 0 offset:248 ; 4-byte Folded Reload
	buffer_load_dword v23, off, s[36:39], 0 offset:252 ; 4-byte Folded Reload
	v_add_f64 v[20:21], v[20:21], -v[30:31]
	global_load_dwordx2 v[6:7], v[6:7], off
	s_waitcnt vmcnt(1)
	global_load_dwordx2 v[22:23], v[22:23], off offset:16
	s_waitcnt vmcnt(1)
	buffer_store_dword v6, off, s[36:39], 0 offset:636 ; 4-byte Folded Spill
	s_nop 0
	buffer_store_dword v7, off, s[36:39], 0 offset:640 ; 4-byte Folded Spill
	buffer_load_dword v26, off, s[36:39], 0 offset:864 ; 4-byte Folded Reload
	buffer_load_dword v27, off, s[36:39], 0 offset:868 ; 4-byte Folded Reload
	s_waitcnt vmcnt(4)
	v_add_f64 v[24:25], v[22:23], -v[28:29]
	global_load_dwordx2 v[8:9], v[8:9], off
	s_waitcnt vmcnt(0)
	buffer_store_dword v8, off, s[36:39], 0 offset:644 ; 4-byte Folded Spill
	s_nop 0
	buffer_store_dword v9, off, s[36:39], 0 offset:648 ; 4-byte Folded Spill
	v_mul_f64 v[6:7], v[26:27], v[6:7]
	v_mul_f64 v[6:7], v[6:7], v[4:5]
	;; [unrolled: 1-line block ×3, first 2 shown]
	v_mov_b32_e32 v24, v48
	v_mov_b32_e32 v25, v49
	v_fma_f64 v[4:5], v[20:21], s[2:3], -v[4:5]
	buffer_load_dword v20, off, s[36:39], 0 offset:856 ; 4-byte Folded Reload
	buffer_load_dword v21, off, s[36:39], 0 offset:860 ; 4-byte Folded Reload
	s_waitcnt vmcnt(0)
	v_mul_f64 v[8:9], v[20:21], v[8:9]
	v_mul_f64 v[8:9], v[8:9], v[4:5]
	;; [unrolled: 1-line block ×3, first 2 shown]
	v_fma_f64 v[4:5], v[18:19], s[2:3], -v[4:5]
	buffer_load_dword v18, off, s[36:39], 0 offset:232 ; 4-byte Folded Reload
	buffer_load_dword v19, off, s[36:39], 0 offset:236 ; 4-byte Folded Reload
	;; [unrolled: 1-line block ×4, first 2 shown]
	v_mul_f64 v[0:1], v[4:5], v[0:1]
	s_waitcnt vmcnt(0)
	v_mul_f64 v[14:15], v[48:49], v[20:21]
	buffer_load_dword v18, off, s[36:39], 0 offset:984 ; 4-byte Folded Reload
	buffer_load_dword v19, off, s[36:39], 0 offset:988 ; 4-byte Folded Reload
	;; [unrolled: 1-line block ×4, first 2 shown]
	v_mul_f64 v[14:15], v[46:47], v[14:15]
	s_waitcnt vmcnt(0)
	v_mov_b32_e32 v49, v21
	v_mov_b32_e32 v48, v20
	buffer_load_dword v18, off, s[36:39], 0 offset:592 ; 4-byte Folded Reload
	buffer_load_dword v19, off, s[36:39], 0 offset:596 ; 4-byte Folded Reload
	;; [unrolled: 1-line block ×8, first 2 shown]
	s_waitcnt vmcnt(4)
	v_mov_b32_e32 v57, v21
	s_waitcnt vmcnt(0)
	v_mov_b32_e32 v26, v28
	v_mov_b32_e32 v27, v29
	buffer_load_dword v28, off, s[36:39], 0 offset:1008 ; 4-byte Folded Reload
	buffer_load_dword v29, off, s[36:39], 0 offset:1012 ; 4-byte Folded Reload
	;; [unrolled: 1-line block ×4, first 2 shown]
	v_mov_b32_e32 v56, v20
	v_add_f64 v[18:19], v[56:57], -v[48:49]
	v_mul_f64 v[18:19], v[18:19], s[0:1]
	s_waitcnt vmcnt(0)
	v_mov_b32_e32 v53, v31
	v_mov_b32_e32 v52, v30
	v_add_f64 v[20:21], v[52:53], -v[26:27]
	buffer_load_dword v28, off, s[36:39], 0 offset:192 ; 4-byte Folded Reload
	buffer_load_dword v29, off, s[36:39], 0 offset:196 ; 4-byte Folded Reload
	buffer_load_dword v30, off, s[36:39], 0 offset:200 ; 4-byte Folded Reload
	buffer_load_dword v31, off, s[36:39], 0 offset:204 ; 4-byte Folded Reload
	v_fma_f64 v[18:19], v[20:21], s[2:3], -v[18:19]
	v_mul_f64 v[14:15], v[18:19], v[14:15]
	buffer_load_dword v18, off, s[36:39], 0 offset:216 ; 4-byte Folded Reload
	buffer_load_dword v19, off, s[36:39], 0 offset:220 ; 4-byte Folded Reload
	;; [unrolled: 1-line block ×4, first 2 shown]
	s_waitcnt vmcnt(6)
	v_mul_f64 v[4:5], v[28:29], v[14:15]
	s_waitcnt vmcnt(0)
	v_fma_f64 v[4:5], v[20:21], v[0:1], v[4:5]
	v_mul_f64 v[0:1], v[18:19], v[2:3]
	buffer_store_dword v0, off, s[36:39], 0 offset:560 ; 4-byte Folded Spill
	s_nop 0
	buffer_store_dword v1, off, s[36:39], 0 offset:564 ; 4-byte Folded Spill
	v_mul_f64 v[0:1], v[18:19], v[12:13]
	buffer_store_dword v0, off, s[36:39], 0 offset:256 ; 4-byte Folded Spill
	s_nop 0
	buffer_store_dword v1, off, s[36:39], 0 offset:260 ; 4-byte Folded Spill
	;; [unrolled: 4-line block ×4, first 2 shown]
	v_add_f64 v[0:1], v[56:57], -v[34:35]
	buffer_store_dword v0, off, s[36:39], 0 offset:592 ; 4-byte Folded Spill
	s_nop 0
	buffer_store_dword v1, off, s[36:39], 0 offset:596 ; 4-byte Folded Spill
	buffer_load_dword v0, off, s[36:39], 0 offset:608 ; 4-byte Folded Reload
	s_nop 0
	buffer_load_dword v1, off, s[36:39], 0 offset:612 ; 4-byte Folded Reload
	s_waitcnt vmcnt(0)
	global_load_dwordx2 v[2:3], v[0:1], off offset:16
	s_waitcnt vmcnt(0)
	v_add_f64 v[0:1], v[2:3], -v[32:33]
	buffer_store_dword v0, off, s[36:39], 0 offset:608 ; 4-byte Folded Spill
	s_nop 0
	buffer_store_dword v1, off, s[36:39], 0 offset:612 ; 4-byte Folded Spill
	buffer_load_dword v12, off, s[36:39], 0 offset:1096 ; 4-byte Folded Reload
	buffer_load_dword v13, off, s[36:39], 0 offset:1100 ; 4-byte Folded Reload
	;; [unrolled: 1-line block ×4, first 2 shown]
	s_waitcnt vmcnt(0)
	v_add_f64 v[0:1], v[48:49], -v[14:15]
	buffer_store_dword v0, off, s[36:39], 0 offset:576 ; 4-byte Folded Spill
	s_nop 0
	buffer_store_dword v1, off, s[36:39], 0 offset:580 ; 4-byte Folded Spill
	buffer_load_dword v0, off, s[36:39], 0 offset:1048 ; 4-byte Folded Reload
	s_nop 0
	buffer_load_dword v1, off, s[36:39], 0 offset:1052 ; 4-byte Folded Reload
	s_waitcnt vmcnt(0)
	global_load_dwordx2 v[6:7], v[0:1], off offset:16
	s_waitcnt vmcnt(0)
	v_add_f64 v[0:1], v[6:7], -v[12:13]
	buffer_store_dword v0, off, s[36:39], 0 offset:584 ; 4-byte Folded Spill
	s_nop 0
	buffer_store_dword v1, off, s[36:39], 0 offset:588 ; 4-byte Folded Spill
	buffer_load_dword v12, off, s[36:39], 0 offset:1080 ; 4-byte Folded Reload
	buffer_load_dword v13, off, s[36:39], 0 offset:1084 ; 4-byte Folded Reload
	;; [unrolled: 1-line block ×4, first 2 shown]
	v_add_f64 v[6:7], v[2:3], -v[6:7]
	v_mul_f64 v[2:3], v[10:11], s[0:1]
	v_mul_f64 v[6:7], v[6:7], s[0:1]
	s_waitcnt vmcnt(0)
	v_add_f64 v[0:1], v[52:53], -v[14:15]
	buffer_store_dword v0, off, s[36:39], 0 offset:544 ; 4-byte Folded Spill
	s_nop 0
	buffer_store_dword v1, off, s[36:39], 0 offset:548 ; 4-byte Folded Spill
	buffer_load_dword v0, off, s[36:39], 0 offset:1056 ; 4-byte Folded Reload
	s_nop 0
	buffer_load_dword v1, off, s[36:39], 0 offset:1060 ; 4-byte Folded Reload
	s_waitcnt vmcnt(0)
	global_load_dwordx2 v[8:9], v[0:1], off offset:16
	s_waitcnt vmcnt(0)
	v_add_f64 v[0:1], v[8:9], -v[12:13]
	buffer_store_dword v0, off, s[36:39], 0 offset:552 ; 4-byte Folded Spill
	s_nop 0
	buffer_store_dword v1, off, s[36:39], 0 offset:556 ; 4-byte Folded Spill
	buffer_load_dword v18, off, s[36:39], 0 offset:1064 ; 4-byte Folded Reload
	buffer_load_dword v19, off, s[36:39], 0 offset:1068 ; 4-byte Folded Reload
	buffer_load_dword v20, off, s[36:39], 0 offset:1072 ; 4-byte Folded Reload
	buffer_load_dword v21, off, s[36:39], 0 offset:1076 ; 4-byte Folded Reload
	s_waitcnt vmcnt(0)
	v_add_f64 v[0:1], v[26:27], -v[20:21]
	buffer_store_dword v0, off, s[36:39], 0 offset:248 ; 4-byte Folded Spill
	s_nop 0
	buffer_store_dword v1, off, s[36:39], 0 offset:252 ; 4-byte Folded Spill
	buffer_load_dword v0, off, s[36:39], 0 offset:1040 ; 4-byte Folded Reload
	s_nop 0
	buffer_load_dword v1, off, s[36:39], 0 offset:1044 ; 4-byte Folded Reload
	v_mov_b32_e32 v26, v50
	v_mov_b32_e32 v27, v51
	s_waitcnt vmcnt(0)
	global_load_dwordx2 v[12:13], v[0:1], off offset:16
	s_waitcnt vmcnt(0)
	v_add_f64 v[0:1], v[12:13], -v[18:19]
	buffer_store_dword v0, off, s[36:39], 0 offset:264 ; 4-byte Folded Spill
	s_nop 0
	buffer_store_dword v1, off, s[36:39], 0 offset:268 ; 4-byte Folded Spill
	buffer_load_dword v0, off, s[36:39], 0 offset:208 ; 4-byte Folded Reload
	s_nop 0
	buffer_load_dword v1, off, s[36:39], 0 offset:212 ; 4-byte Folded Reload
	v_add_f64 v[8:9], v[8:9], -v[12:13]
	s_waitcnt vmcnt(0)
	global_load_dwordx2 v[0:1], v[0:1], off offset:16
	s_nop 0
	buffer_load_dword v14, off, s[36:39], 0 offset:668 ; 4-byte Folded Reload
	buffer_load_dword v15, off, s[36:39], 0 offset:672 ; 4-byte Folded Reload
	s_waitcnt vmcnt(0)
	v_mul_f64 v[0:1], v[14:15], v[0:1]
	v_add_f64 v[14:15], v[16:17], -v[22:23]
	v_fma_f64 v[22:23], v[8:9], s[2:3], -v[6:7]
	buffer_load_dword v6, off, s[36:39], 0 offset:184 ; 4-byte Folded Reload
	buffer_load_dword v7, off, s[36:39], 0 offset:188 ; 4-byte Folded Reload
	v_mul_f64 v[0:1], v[54:55], v[0:1]
	v_fma_f64 v[2:3], v[14:15], s[2:3], -v[2:3]
	v_mul_f64 v[0:1], v[2:3], v[0:1]
	s_waitcnt vmcnt(0)
	global_load_dwordx2 v[6:7], v[6:7], off offset:16
	s_waitcnt vmcnt(0)
	v_mul_f64 v[6:7], v[26:27], v[6:7]
	v_mul_f64 v[6:7], v[54:55], v[6:7]
	;; [unrolled: 1-line block ×4, first 2 shown]
	buffer_load_dword v6, off, s[36:39], 0 offset:484 ; 4-byte Folded Reload
	buffer_load_dword v7, off, s[36:39], 0 offset:488 ; 4-byte Folded Reload
	;; [unrolled: 1-line block ×4, first 2 shown]
	s_waitcnt vmcnt(2)
	v_fma_f64 v[12:13], v[6:7], v[0:1], v[2:3]
	s_waitcnt vmcnt(0)
	global_load_dwordx4 v[0:3], v[14:15], off offset:-16
	buffer_load_dword v6, off, s[36:39], 0 offset:820 ; 4-byte Folded Reload
	buffer_load_dword v7, off, s[36:39], 0 offset:824 ; 4-byte Folded Reload
	;; [unrolled: 1-line block ×4, first 2 shown]
	s_waitcnt vmcnt(0)
	v_mov_b32_e32 v17, v9
	v_mov_b32_e32 v16, v8
	v_add_f64 v[6:7], v[16:17], -v[2:3]
	buffer_store_dword v6, off, s[36:39], 0 offset:732 ; 4-byte Folded Spill
	s_nop 0
	buffer_store_dword v7, off, s[36:39], 0 offset:736 ; 4-byte Folded Spill
	buffer_load_dword v8, off, s[36:39], 0 offset:748 ; 4-byte Folded Reload
	buffer_load_dword v9, off, s[36:39], 0 offset:752 ; 4-byte Folded Reload
	;; [unrolled: 1-line block ×6, first 2 shown]
	s_waitcnt vmcnt(2)
	v_add_f64 v[48:49], v[16:17], -v[10:11]
	s_waitcnt vmcnt(0)
	global_load_dwordx4 v[6:9], v[18:19], off offset:-16
	s_waitcnt vmcnt(0)
	v_add_f64 v[10:11], v[10:11], -v[8:9]
	buffer_store_dword v10, off, s[36:39], 0 offset:668 ; 4-byte Folded Spill
	s_nop 0
	buffer_store_dword v11, off, s[36:39], 0 offset:672 ; 4-byte Folded Spill
	global_load_dwordx2 v[14:15], v[14:15], off offset:16
	v_add_f64 v[16:17], v[0:1], -v[6:7]
	v_add_f64 v[50:51], v[2:3], -v[8:9]
	s_waitcnt vmcnt(0)
	v_add_f64 v[10:11], v[14:15], -v[0:1]
	buffer_store_dword v10, off, s[36:39], 0 offset:748 ; 4-byte Folded Spill
	s_nop 0
	buffer_store_dword v11, off, s[36:39], 0 offset:752 ; 4-byte Folded Spill
	global_load_dwordx2 v[18:19], v[18:19], off offset:16
	s_waitcnt vmcnt(0)
	v_add_f64 v[0:1], v[18:19], -v[6:7]
	buffer_store_dword v0, off, s[36:39], 0 offset:740 ; 4-byte Folded Spill
	s_nop 0
	buffer_store_dword v1, off, s[36:39], 0 offset:744 ; 4-byte Folded Spill
	buffer_load_dword v30, off, s[36:39], 0 offset:788 ; 4-byte Folded Reload
	buffer_load_dword v31, off, s[36:39], 0 offset:792 ; 4-byte Folded Reload
	v_add_f64 v[14:15], v[14:15], -v[18:19]
	s_waitcnt vmcnt(0)
	global_load_dwordx4 v[0:3], v[30:31], off offset:-16
	buffer_load_dword v8, off, s[36:39], 0 offset:796 ; 4-byte Folded Reload
	buffer_load_dword v9, off, s[36:39], 0 offset:800 ; 4-byte Folded Reload
	;; [unrolled: 1-line block ×4, first 2 shown]
	s_waitcnt vmcnt(0)
	v_add_f64 v[6:7], v[10:11], -v[2:3]
	buffer_store_dword v6, off, s[36:39], 0 offset:484 ; 4-byte Folded Spill
	s_nop 0
	buffer_store_dword v7, off, s[36:39], 0 offset:488 ; 4-byte Folded Spill
	buffer_load_dword v6, off, s[36:39], 0 offset:716 ; 4-byte Folded Reload
	s_nop 0
	buffer_load_dword v7, off, s[36:39], 0 offset:720 ; 4-byte Folded Reload
	buffer_load_dword v8, off, s[36:39], 0 offset:724 ; 4-byte Folded Reload
	;; [unrolled: 1-line block ×5, first 2 shown]
	s_waitcnt vmcnt(2)
	v_mov_b32_e32 v21, v9
	v_mov_b32_e32 v20, v8
	s_waitcnt vmcnt(0)
	global_load_dwordx4 v[6:9], v[28:29], off offset:-16
	v_add_f64 v[10:11], v[10:11], -v[20:21]
	s_waitcnt vmcnt(0)
	v_add_f64 v[20:21], v[20:21], -v[8:9]
	buffer_store_dword v20, off, s[36:39], 0 offset:208 ; 4-byte Folded Spill
	s_nop 0
	buffer_store_dword v21, off, s[36:39], 0 offset:212 ; 4-byte Folded Spill
	buffer_load_dword v22, off, s[36:39], 0 offset:708 ; 4-byte Folded Reload
	buffer_load_dword v23, off, s[36:39], 0 offset:712 ; 4-byte Folded Reload
	global_load_dwordx2 v[18:19], v[30:31], off offset:16
	v_add_f64 v[58:59], v[2:3], -v[8:9]
	v_mul_f64 v[8:9], v[14:15], s[0:1]
	s_waitcnt vmcnt(1)
	global_load_dwordx2 v[20:21], v[22:23], off offset:16
	s_waitcnt vmcnt(0)
	v_mul_f64 v[20:21], v[26:27], v[20:21]
	v_add_f64 v[26:27], v[18:19], -v[0:1]
	buffer_store_dword v26, off, s[36:39], 0 offset:716 ; 4-byte Folded Spill
	s_nop 0
	buffer_store_dword v27, off, s[36:39], 0 offset:720 ; 4-byte Folded Spill
	global_load_dwordx2 v[2:3], v[28:29], off offset:16
	v_add_f64 v[0:1], v[0:1], -v[6:7]
	s_waitcnt vmcnt(0)
	v_add_f64 v[6:7], v[2:3], -v[6:7]
	v_add_f64 v[2:3], v[18:19], -v[2:3]
	buffer_store_dword v6, off, s[36:39], 0 offset:676 ; 4-byte Folded Spill
	s_nop 0
	buffer_store_dword v7, off, s[36:39], 0 offset:680 ; 4-byte Folded Spill
	v_mul_f64 v[6:7], v[54:55], v[20:21]
	v_fma_f64 v[2:3], v[2:3], s[2:3], -v[8:9]
	v_mov_b32_e32 v19, s23
	v_fma_f64 v[2:3], v[2:3], v[6:7], v[12:13]
	buffer_store_dword v2, off, s[36:39], 0 offset:184 ; 4-byte Folded Spill
	s_nop 0
	buffer_store_dword v3, off, s[36:39], 0 offset:188 ; 4-byte Folded Spill
	v_mul_f64 v[2:3], v[16:17], s[0:1]
	buffer_load_dword v6, off, s[36:39], 0 offset:168 ; 4-byte Folded Reload
	buffer_load_dword v7, off, s[36:39], 0 offset:172 ; 4-byte Folded Reload
	;; [unrolled: 1-line block ×4, first 2 shown]
	v_mov_b32_e32 v16, s17
	v_fma_f64 v[14:15], v[0:1], s[2:3], -v[2:3]
	global_load_dwordx4 v[0:3], v[22:23], off offset:-16
	buffer_load_dword v6, off, s[36:39], 0 offset:764 ; 4-byte Folded Reload
	buffer_load_dword v7, off, s[36:39], 0 offset:768 ; 4-byte Folded Reload
	s_waitcnt vmcnt(3)
	v_mul_f64 v[12:13], v[24:25], v[8:9]
	v_mov_b32_e32 v8, s17
	s_waitcnt vmcnt(2)
	v_mul_f64 v[0:1], v[38:39], v[0:1]
	v_mul_f64 v[2:3], v[40:41], v[2:3]
	;; [unrolled: 1-line block ×3, first 2 shown]
	s_waitcnt vmcnt(0)
	v_fma_f64 v[0:1], v[14:15], v[0:1], v[6:7]
	v_mul_f64 v[6:7], v[48:49], s[0:1]
	buffer_store_dword v0, off, s[36:39], 0 offset:168 ; 4-byte Folded Spill
	s_nop 0
	buffer_store_dword v1, off, s[36:39], 0 offset:172 ; 4-byte Folded Spill
	v_mul_f64 v[0:1], v[46:47], v[12:13]
	v_fma_f64 v[6:7], v[10:11], s[2:3], -v[6:7]
	v_mov_b32_e32 v12, s17
	v_fma_f64 v[0:1], v[6:7], v[0:1], v[4:5]
	buffer_store_dword v0, off, s[36:39], 0 offset:620 ; 4-byte Folded Spill
	s_nop 0
	buffer_store_dword v1, off, s[36:39], 0 offset:624 ; 4-byte Folded Spill
	buffer_load_dword v4, off, s[36:39], 0 offset:772 ; 4-byte Folded Reload
	buffer_load_dword v5, off, s[36:39], 0 offset:776 ; 4-byte Folded Reload
	v_mul_f64 v[0:1], v[44:45], v[2:3]
	v_mul_f64 v[2:3], v[50:51], s[0:1]
	v_fma_f64 v[2:3], v[58:59], s[2:3], -v[2:3]
	s_waitcnt vmcnt(0)
	v_fma_f64 v[0:1], v[2:3], v[0:1], v[4:5]
	buffer_store_dword v0, off, s[36:39], 0 offset:152 ; 4-byte Folded Spill
	s_nop 0
	buffer_store_dword v1, off, s[36:39], 0 offset:156 ; 4-byte Folded Spill
	buffer_load_dword v13, off, s[36:39], 0 offset:472 ; 4-byte Folded Reload
	buffer_load_dword v48, off, s[36:39], 0 offset:616 ; 4-byte Folded Reload
	;; [unrolled: 1-line block ×5, first 2 shown]
	v_mov_b32_e32 v4, s17
	s_waitcnt vmcnt(3)
	v_add3_u32 v2, v13, v48, s6
	v_ashrrev_i32_e32 v3, 31, v2
	v_lshlrev_b64 v[0:1], 3, v[2:3]
	v_add_u32_e32 v2, s6, v2
	v_ashrrev_i32_e32 v3, 31, v2
	v_add_co_u32_e32 v0, vcc, s16, v0
	v_lshlrev_b64 v[2:3], 3, v[2:3]
	v_addc_co_u32_e32 v1, vcc, v4, v1, vcc
	s_waitcnt vmcnt(2)
	v_add3_u32 v6, v13, v46, s6
	v_add_co_u32_e32 v2, vcc, s16, v2
	v_ashrrev_i32_e32 v7, 31, v6
	v_addc_co_u32_e32 v3, vcc, v4, v3, vcc
	v_lshlrev_b64 v[4:5], 3, v[6:7]
	v_add_u32_e32 v6, s6, v6
	v_ashrrev_i32_e32 v7, 31, v6
	v_add_co_u32_e32 v4, vcc, s16, v4
	v_lshlrev_b64 v[6:7], 3, v[6:7]
	v_addc_co_u32_e32 v5, vcc, v8, v5, vcc
	s_waitcnt vmcnt(1)
	v_add3_u32 v10, v13, v47, s6
	v_add_co_u32_e32 v6, vcc, s16, v6
	v_ashrrev_i32_e32 v11, 31, v10
	v_addc_co_u32_e32 v7, vcc, v8, v7, vcc
	;; [unrolled: 11-line block ×3, first 2 shown]
	v_lshlrev_b64 v[12:13], 3, v[14:15]
	v_add_u32_e32 v14, s6, v14
	v_ashrrev_i32_e32 v15, 31, v14
	v_add_co_u32_e32 v12, vcc, s16, v12
	v_lshlrev_b64 v[14:15], 3, v[14:15]
	v_addc_co_u32_e32 v13, vcc, v16, v13, vcc
	v_add_co_u32_e32 v14, vcc, s16, v14
	v_addc_co_u32_e32 v15, vcc, v16, v15, vcc
	buffer_load_dword v16, off, s[36:39], 0 offset:428 ; 4-byte Folded Reload
	global_load_dwordx2 v[30:31], v[0:1], off
	global_load_dwordx2 v[32:33], v[4:5], off
	;; [unrolled: 1-line block ×4, first 2 shown]
	s_waitcnt vmcnt(2)
	v_add_f64 v[4:5], v[30:31], -v[32:33]
	v_add_u32_e32 v16, s4, v16
	s_waitcnt vmcnt(0)
	v_add_f64 v[8:9], v[36:37], -v[40:41]
	v_ashrrev_i32_e32 v17, 31, v16
	v_lshlrev_b64 v[17:18], 3, v[16:17]
	v_subrev_u32_e32 v16, s6, v16
	v_add_co_u32_e32 v20, vcc, s22, v17
	v_mul_f64 v[4:5], v[4:5], s[0:1]
	v_addc_co_u32_e32 v21, vcc, v19, v18, vcc
	v_ashrrev_i32_e32 v17, 31, v16
	v_lshlrev_b64 v[16:17], 3, v[16:17]
	v_mov_b32_e32 v18, s23
	v_add_co_u32_e32 v22, vcc, s22, v16
	v_fma_f64 v[4:5], v[8:9], s[2:3], -v[4:5]
	global_load_dwordx2 v[8:9], v[20:21], off
	buffer_load_dword v12, off, s[36:39], 0 offset:412 ; 4-byte Folded Reload
	buffer_load_dword v13, off, s[36:39], 0 offset:416 ; 4-byte Folded Reload
	;; [unrolled: 1-line block ×4, first 2 shown]
	v_addc_co_u32_e32 v23, vcc, v18, v17, vcc
	v_mov_b32_e32 v19, v24
	s_waitcnt vmcnt(2)
	v_mul_f64 v[8:9], v[12:13], v[8:9]
	s_waitcnt vmcnt(0)
	v_mul_f64 v[8:9], v[0:1], v[8:9]
	v_mul_f64 v[4:5], v[4:5], v[8:9]
	global_load_dwordx2 v[8:9], v[22:23], off
	s_waitcnt vmcnt(0)
	v_mul_f64 v[8:9], v[12:13], v[8:9]
	buffer_load_dword v12, off, s[36:39], 0 offset:420 ; 4-byte Folded Reload
	buffer_load_dword v13, off, s[36:39], 0 offset:424 ; 4-byte Folded Reload
	v_mul_f64 v[8:9], v[0:1], v[8:9]
	s_waitcnt vmcnt(0)
	v_mul_f64 v[4:5], v[12:13], v[4:5]
	global_load_dwordx2 v[12:13], v[2:3], off
	s_waitcnt vmcnt(0)
	buffer_store_dword v12, off, s[36:39], 0 offset:472 ; 4-byte Folded Spill
	s_nop 0
	buffer_store_dword v13, off, s[36:39], 0 offset:476 ; 4-byte Folded Spill
	global_load_dwordx2 v[2:3], v[6:7], off
	s_waitcnt vmcnt(0)
	buffer_store_dword v2, off, s[36:39], 0 offset:428 ; 4-byte Folded Spill
	s_nop 0
	buffer_store_dword v3, off, s[36:39], 0 offset:432 ; 4-byte Folded Spill
	;; [unrolled: 5-line block ×4, first 2 shown]
	buffer_load_dword v44, off, s[36:39], 0 offset:144 ; 4-byte Folded Reload
	buffer_load_dword v45, off, s[36:39], 0 offset:148 ; 4-byte Folded Reload
	v_add_f64 v[2:3], v[12:13], -v[2:3]
	v_mul_f64 v[2:3], v[2:3], s[0:1]
	v_add_f64 v[6:7], v[6:7], -v[0:1]
	s_waitcnt vmcnt(0)
	v_mul_f64 v[4:5], v[44:45], v[4:5]
	v_fma_f64 v[2:3], v[6:7], s[2:3], -v[2:3]
	v_fma_f64 v[0:1], v[2:3], v[8:9], v[4:5]
	buffer_store_dword v0, off, s[36:39], 0 offset:404 ; 4-byte Folded Spill
	s_nop 0
	buffer_store_dword v1, off, s[36:39], 0 offset:408 ; 4-byte Folded Spill
	buffer_load_dword v1, off, s[36:39], 0 offset:356 ; 4-byte Folded Reload
	v_mov_b32_e32 v0, s17
	s_waitcnt vmcnt(0)
	v_add3_u32 v2, v1, v48, s6
	v_ashrrev_i32_e32 v3, 31, v2
	v_lshlrev_b64 v[3:4], 3, v[2:3]
	v_add_u32_e32 v5, s6, v2
	v_ashrrev_i32_e32 v6, 31, v5
	v_add_co_u32_e32 v3, vcc, s16, v3
	v_lshlrev_b64 v[5:6], 3, v[5:6]
	v_add3_u32 v7, v1, v46, s6
	v_addc_co_u32_e32 v4, vcc, v0, v4, vcc
	v_ashrrev_i32_e32 v8, 31, v7
	v_add_co_u32_e32 v5, vcc, s16, v5
	v_lshlrev_b64 v[8:9], 3, v[7:8]
	v_add_u32_e32 v10, s6, v7
	v_addc_co_u32_e32 v6, vcc, v0, v6, vcc
	v_ashrrev_i32_e32 v11, 31, v10
	v_add_co_u32_e32 v8, vcc, s16, v8
	v_lshlrev_b64 v[10:11], 3, v[10:11]
	v_add3_u32 v12, v1, v47, s6
	v_addc_co_u32_e32 v9, vcc, v0, v9, vcc
	v_ashrrev_i32_e32 v13, 31, v12
	v_add_co_u32_e32 v10, vcc, s16, v10
	v_lshlrev_b64 v[13:14], 3, v[12:13]
	v_add_u32_e32 v20, s6, v12
	v_addc_co_u32_e32 v11, vcc, v0, v11, vcc
	;; [unrolled: 10-line block ×3, first 2 shown]
	v_ashrrev_i32_e32 v26, 31, v25
	v_add_co_u32_e32 v23, vcc, s16, v23
	v_lshlrev_b64 v[25:26], 3, v[25:26]
	v_addc_co_u32_e32 v24, vcc, v0, v24, vcc
	v_add_co_u32_e32 v34, vcc, s16, v25
	v_addc_co_u32_e32 v35, vcc, v0, v26, vcc
	buffer_load_dword v0, off, s[36:39], 0 offset:332 ; 4-byte Folded Reload
	global_load_dwordx2 v[38:39], v[3:4], off
	global_load_dwordx2 v[42:43], v[8:9], off
	s_nop 0
	global_load_dwordx2 v[13:14], v[13:14], off
	s_nop 0
	global_load_dwordx2 v[22:23], v[23:24], off
	s_waitcnt vmcnt(2)
	v_add_f64 v[2:3], v[38:39], -v[42:43]
	v_add_u32_e32 v25, s4, v0
	s_waitcnt vmcnt(0)
	v_add_f64 v[7:8], v[13:14], -v[22:23]
	v_ashrrev_i32_e32 v26, 31, v25
	v_lshlrev_b64 v[26:27], 3, v[25:26]
	v_subrev_u32_e32 v28, s6, v25
	v_ashrrev_i32_e32 v29, 31, v28
	v_mov_b32_e32 v0, s23
	v_mul_f64 v[2:3], v[2:3], s[0:1]
	v_add_co_u32_e32 v26, vcc, s22, v26
	v_lshlrev_b64 v[28:29], 3, v[28:29]
	v_addc_co_u32_e32 v27, vcc, v0, v27, vcc
	v_add_co_u32_e32 v28, vcc, s22, v28
	v_addc_co_u32_e32 v29, vcc, v0, v29, vcc
	v_fma_f64 v[2:3], v[7:8], s[2:3], -v[2:3]
	global_load_dwordx2 v[7:8], v[26:27], off
	global_load_dwordx2 v[24:25], v[28:29], off
	buffer_load_dword v0, off, s[36:39], 0 offset:348 ; 4-byte Folded Reload
	buffer_load_dword v1, off, s[36:39], 0 offset:352 ; 4-byte Folded Reload
	v_add_f64 v[29:30], v[30:31], -v[38:39]
	v_add_f64 v[31:32], v[32:33], -v[42:43]
	v_mul_f64 v[29:30], v[29:30], s[0:1]
	v_mul_f64 v[31:32], v[31:32], s[0:1]
	s_waitcnt vmcnt(0)
	v_mul_f64 v[7:8], v[0:1], v[7:8]
	v_mul_f64 v[24:25], v[0:1], v[24:25]
	buffer_load_dword v0, off, s[36:39], 0 offset:340 ; 4-byte Folded Reload
	buffer_load_dword v1, off, s[36:39], 0 offset:344 ; 4-byte Folded Reload
	global_load_dwordx2 v[15:16], v[5:6], off
	s_waitcnt vmcnt(0)
	buffer_store_dword v15, off, s[36:39], 0 offset:652 ; 4-byte Folded Spill
	s_nop 0
	buffer_store_dword v16, off, s[36:39], 0 offset:656 ; 4-byte Folded Spill
	global_load_dwordx2 v[4:5], v[10:11], off
	s_waitcnt vmcnt(0)
	buffer_store_dword v4, off, s[36:39], 0 offset:356 ; 4-byte Folded Spill
	s_nop 0
	buffer_store_dword v5, off, s[36:39], 0 offset:360 ; 4-byte Folded Spill
	global_load_dwordx2 v[9:10], v[20:21], off
	v_mul_f64 v[7:8], v[0:1], v[7:8]
	s_waitcnt vmcnt(0)
	buffer_store_dword v9, off, s[36:39], 0 offset:348 ; 4-byte Folded Spill
	s_nop 0
	buffer_store_dword v10, off, s[36:39], 0 offset:352 ; 4-byte Folded Spill
	v_mul_f64 v[2:3], v[2:3], v[7:8]
	v_mul_f64 v[7:8], v[0:1], v[24:25]
	global_load_dwordx2 v[0:1], v[34:35], off
	s_waitcnt vmcnt(0)
	buffer_store_dword v0, off, s[36:39], 0 offset:340 ; 4-byte Folded Spill
	s_nop 0
	buffer_store_dword v1, off, s[36:39], 0 offset:344 ; 4-byte Folded Spill
	v_add_f64 v[4:5], v[15:16], -v[4:5]
	buffer_load_dword v15, off, s[36:39], 0 offset:364 ; 4-byte Folded Reload
	buffer_load_dword v16, off, s[36:39], 0 offset:368 ; 4-byte Folded Reload
	;; [unrolled: 1-line block ×4, first 2 shown]
	v_mul_f64 v[4:5], v[4:5], s[0:1]
	v_add_f64 v[9:10], v[9:10], -v[0:1]
	s_waitcnt vmcnt(2)
	v_mul_f64 v[2:3], v[15:16], v[2:3]
	v_fma_f64 v[4:5], v[9:10], s[2:3], -v[4:5]
	v_mul_f64 v[2:3], v[44:45], v[2:3]
	v_fma_f64 v[0:1], v[4:5], v[7:8], v[2:3]
	buffer_store_dword v0, off, s[36:39], 0 offset:332 ; 4-byte Folded Spill
	s_nop 0
	buffer_store_dword v1, off, s[36:39], 0 offset:336 ; 4-byte Folded Spill
	buffer_load_dword v4, off, s[36:39], 0 offset:324 ; 4-byte Folded Reload
	s_nop 0
	buffer_load_dword v1, off, s[36:39], 0 offset:316 ; 4-byte Folded Reload
	v_mov_b32_e32 v5, v48
	v_mov_b32_e32 v0, s17
	s_waitcnt vmcnt(1)
	v_add3_u32 v10, v4, v5, s6
	v_ashrrev_i32_e32 v11, 31, v10
	v_lshlrev_b64 v[2:3], 3, v[10:11]
	s_waitcnt vmcnt(0)
	v_add3_u32 v11, v1, v5, s6
	v_add_co_u32_e32 v20, vcc, s16, v2
	v_ashrrev_i32_e32 v12, 31, v11
	v_addc_co_u32_e32 v21, vcc, v0, v3, vcc
	v_lshlrev_b64 v[2:3], 3, v[11:12]
	v_mov_b32_e32 v5, v46
	v_add3_u32 v15, v4, v5, s6
	v_add_co_u32_e32 v48, vcc, s16, v2
	v_ashrrev_i32_e32 v16, 31, v15
	v_addc_co_u32_e32 v49, vcc, v0, v3, vcc
	v_mov_b32_e32 v2, v4
	v_lshlrev_b64 v[3:4], 3, v[15:16]
	v_add3_u32 v25, v1, v5, s6
	v_add_co_u32_e32 v50, vcc, s16, v3
	v_ashrrev_i32_e32 v26, 31, v25
	v_addc_co_u32_e32 v51, vcc, v0, v4, vcc
	v_lshlrev_b64 v[4:5], 3, v[25:26]
	v_mov_b32_e32 v3, v47
	v_add3_u32 v26, v2, v3, s6
	v_add_co_u32_e32 v52, vcc, s16, v4
	v_ashrrev_i32_e32 v27, 31, v26
	v_addc_co_u32_e32 v53, vcc, v0, v5, vcc
	v_lshlrev_b64 v[5:6], 3, v[26:27]
	v_add3_u32 v27, v1, v3, s6
	v_add_co_u32_e32 v54, vcc, s16, v5
	v_ashrrev_i32_e32 v28, 31, v27
	v_addc_co_u32_e32 v55, vcc, v0, v6, vcc
	v_lshlrev_b64 v[6:7], 3, v[27:28]
	v_mov_b32_e32 v3, v19
	v_add_co_u32_e32 v56, vcc, s16, v6
	v_add3_u32 v6, v2, v3, s6
	v_addc_co_u32_e32 v57, vcc, v0, v7, vcc
	v_ashrrev_i32_e32 v7, 31, v6
	v_lshlrev_b64 v[7:8], 3, v[6:7]
	v_mov_b32_e32 v12, s23
	v_add_co_u32_e32 v4, vcc, s16, v7
	v_add3_u32 v7, v1, v3, s6
	v_addc_co_u32_e32 v5, vcc, v0, v8, vcc
	v_ashrrev_i32_e32 v8, 31, v7
	v_lshlrev_b64 v[8:9], 3, v[7:8]
	v_add_co_u32_e32 v2, vcc, s16, v8
	v_addc_co_u32_e32 v3, vcc, v0, v9, vcc
	buffer_load_dword v0, off, s[36:39], 0 offset:308 ; 4-byte Folded Reload
	s_nop 0
	global_load_dwordx2 v[19:20], v[20:21], off
	s_nop 0
	global_load_dwordx2 v[38:39], v[48:49], off
	v_add_f64 v[21:22], v[40:41], -v[22:23]
	v_mul_f64 v[21:22], v[21:22], s[0:1]
	s_waitcnt vmcnt(2)
	v_add_u32_e32 v8, s4, v0
	v_ashrrev_i32_e32 v9, 31, v8
	v_lshlrev_b64 v[0:1], 3, v[8:9]
	s_waitcnt vmcnt(0)
	v_add_f64 v[42:43], v[19:20], -v[38:39]
	v_add_co_u32_e32 v0, vcc, s22, v0
	v_addc_co_u32_e32 v1, vcc, v12, v1, vcc
	v_add_f64 v[12:13], v[36:37], -v[13:14]
	global_load_dwordx2 v[36:37], v[50:51], off
	s_nop 0
	global_load_dwordx2 v[52:53], v[52:53], off
	s_nop 0
	global_load_dwordx2 v[23:24], v[54:55], off
	global_load_dwordx2 v[40:41], v[56:57], off
	s_nop 0
	global_load_dwordx2 v[4:5], v[4:5], off
	s_nop 0
	global_load_dwordx2 v[2:3], v[2:3], off
	v_fma_f64 v[29:30], v[42:43], s[2:3], -v[29:30]
	global_load_dwordx2 v[0:1], v[0:1], off
	v_mov_b32_e32 v9, s23
	v_subrev_u32_e32 v16, s6, v8
	v_mul_f64 v[12:13], v[12:13], s[0:1]
	s_waitcnt vmcnt(6)
	v_add_f64 v[19:20], v[19:20], -v[36:37]
	s_waitcnt vmcnt(5)
	v_add_f64 v[42:43], v[36:37], -v[52:53]
	;; [unrolled: 2-line block ×3, first 2 shown]
	v_add_f64 v[4:5], v[23:24], -v[4:5]
	v_mul_f64 v[19:20], v[19:20], s[0:1]
	v_fma_f64 v[31:32], v[42:43], s[2:3], -v[31:32]
	v_add_f64 v[42:43], v[23:24], -v[40:41]
	v_fma_f64 v[36:37], v[36:37], s[2:3], -v[21:22]
	v_fma_f64 v[4:5], v[4:5], s[2:3], -v[19:20]
	buffer_load_dword v19, off, s[36:39], 0 offset:24 ; 4-byte Folded Reload
	buffer_load_dword v20, off, s[36:39], 0 offset:28 ; 4-byte Folded Reload
	v_fma_f64 v[12:13], v[42:43], s[2:3], -v[12:13]
	s_waitcnt vmcnt(0)
	v_mul_f64 v[0:1], v[19:20], v[0:1]
	buffer_load_dword v19, off, s[36:39], 0 offset:16 ; 4-byte Folded Reload
	buffer_load_dword v20, off, s[36:39], 0 offset:20 ; 4-byte Folded Reload
	s_waitcnt vmcnt(0)
	v_mul_f64 v[0:1], v[19:20], v[0:1]
	v_mul_f64 v[0:1], v[4:5], v[0:1]
	buffer_load_dword v33, off, s[36:39], 0 offset:452 ; 4-byte Folded Reload
	buffer_load_dword v34, off, s[36:39], 0 offset:456 ; 4-byte Folded Reload
	;; [unrolled: 1-line block ×20, first 2 shown]
	s_waitcnt vmcnt(16)
	v_mul_f64 v[4:5], v[33:34], v[4:5]
	s_waitcnt vmcnt(12)
	v_mul_f64 v[19:20], v[44:45], v[19:20]
	;; [unrolled: 2-line block ×4, first 2 shown]
	v_mul_f64 v[42:43], v[4:5], v[60:61]
	buffer_load_dword v60, off, s[36:39], 0 offset:644 ; 4-byte Folded Reload
	buffer_load_dword v61, off, s[36:39], 0 offset:648 ; 4-byte Folded Reload
	;; [unrolled: 1-line block ×6, first 2 shown]
	s_waitcnt vmcnt(8)
	v_mul_f64 v[48:49], v[19:20], v[46:47]
	s_waitcnt vmcnt(6)
	v_mul_f64 v[21:22], v[21:22], v[58:59]
	v_mul_f64 v[4:5], v[42:43], v[29:30]
	;; [unrolled: 1-line block ×4, first 2 shown]
	s_waitcnt vmcnt(2)
	v_mul_f64 v[4:5], v[54:55], v[4:5]
	buffer_store_dword v4, off, s[36:39], 0 offset:308 ; 4-byte Folded Spill
	s_nop 0
	buffer_store_dword v5, off, s[36:39], 0 offset:312 ; 4-byte Folded Spill
	v_mul_f64 v[4:5], v[54:55], v[29:30]
	v_mul_f64 v[23:24], v[23:24], v[60:61]
	buffer_store_dword v4, off, s[36:39], 0 offset:316 ; 4-byte Folded Spill
	s_nop 0
	buffer_store_dword v5, off, s[36:39], 0 offset:320 ; 4-byte Folded Spill
	v_mul_f64 v[4:5], v[54:55], v[12:13]
	;; [unrolled: 5-line block ×3, first 2 shown]
	s_waitcnt vmcnt(6)
	v_mul_f64 v[0:1], v[56:57], v[0:1]
	buffer_store_dword v4, off, s[36:39], 0 offset:128 ; 4-byte Folded Spill
	s_nop 0
	buffer_store_dword v5, off, s[36:39], 0 offset:132 ; 4-byte Folded Spill
	buffer_store_dword v0, off, s[36:39], 0 offset:136 ; 4-byte Folded Spill
	s_nop 0
	buffer_store_dword v1, off, s[36:39], 0 offset:140 ; 4-byte Folded Spill
	buffer_load_dword v0, off, s[36:39], 0 offset:304 ; 4-byte Folded Reload
	v_add_f64 v[12:13], v[38:39], -v[52:53]
	v_mul_f64 v[12:13], v[12:13], s[0:1]
	s_waitcnt vmcnt(0)
	v_add_u32_e32 v0, s4, v0
	v_ashrrev_i32_e32 v1, 31, v0
	v_lshlrev_b64 v[4:5], 3, v[0:1]
	v_add_f64 v[1:2], v[40:41], -v[2:3]
	v_add_co_u32_e32 v4, vcc, s22, v4
	v_addc_co_u32_e32 v5, vcc, v9, v5, vcc
	global_load_dwordx2 v[3:4], v[4:5], off
	v_add_u32_e32 v5, s6, v6
	v_ashrrev_i32_e32 v6, 31, v5
	v_fma_f64 v[1:2], v[1:2], s[2:3], -v[12:13]
	buffer_load_dword v12, off, s[36:39], 0 offset:8 ; 4-byte Folded Reload
	buffer_load_dword v13, off, s[36:39], 0 offset:12 ; 4-byte Folded Reload
	v_lshlrev_b64 v[5:6], 3, v[5:6]
	s_waitcnt vmcnt(0)
	v_mul_f64 v[3:4], v[12:13], v[3:4]
	buffer_load_dword v12, off, s[36:39], 0 ; 4-byte Folded Reload
	buffer_load_dword v13, off, s[36:39], 0 offset:4 ; 4-byte Folded Reload
	s_waitcnt vmcnt(0)
	v_mul_f64 v[3:4], v[12:13], v[3:4]
	v_mul_f64 v[1:2], v[1:2], v[3:4]
	v_mov_b32_e32 v3, s17
	v_mul_f64 v[1:2], v[17:18], v[1:2]
	buffer_store_dword v1, off, s[36:39], 0 offset:192 ; 4-byte Folded Spill
	s_nop 0
	buffer_store_dword v2, off, s[36:39], 0 offset:196 ; 4-byte Folded Spill
	v_add_u32_e32 v1, s6, v10
	v_ashrrev_i32_e32 v2, 31, v1
	v_lshlrev_b64 v[1:2], 3, v[1:2]
	v_ashrrev_i32_e32 v17, 31, v16
	v_add_co_u32_e32 v13, vcc, s16, v1
	v_add_u32_e32 v1, s6, v11
	v_addc_co_u32_e32 v14, vcc, v3, v2, vcc
	v_ashrrev_i32_e32 v2, 31, v1
	v_lshlrev_b64 v[1:2], 3, v[1:2]
	v_lshlrev_b64 v[16:17], 3, v[16:17]
	v_add_co_u32_e32 v9, vcc, s16, v1
	v_add_u32_e32 v1, s6, v15
	v_addc_co_u32_e32 v10, vcc, v3, v2, vcc
	v_ashrrev_i32_e32 v2, 31, v1
	v_lshlrev_b64 v[1:2], 3, v[1:2]
	v_add_co_u32_e32 v19, vcc, s16, v1
	v_add_u32_e32 v1, s6, v25
	v_addc_co_u32_e32 v20, vcc, v3, v2, vcc
	v_ashrrev_i32_e32 v2, 31, v1
	v_lshlrev_b64 v[1:2], 3, v[1:2]
	v_add_co_u32_e32 v11, vcc, s16, v1
	v_addc_co_u32_e32 v12, vcc, v3, v2, vcc
	v_add_u32_e32 v3, s6, v26
	v_ashrrev_i32_e32 v4, 31, v3
	v_lshlrev_b64 v[3:4], 3, v[3:4]
	v_mov_b32_e32 v1, s17
	v_add_co_u32_e32 v38, vcc, s16, v3
	v_add_u32_e32 v3, s6, v27
	v_addc_co_u32_e32 v39, vcc, v1, v4, vcc
	v_ashrrev_i32_e32 v4, 31, v3
	v_lshlrev_b64 v[3:4], 3, v[3:4]
	v_add_co_u32_e32 v29, vcc, s16, v3
	v_addc_co_u32_e32 v30, vcc, v1, v4, vcc
	v_add_co_u32_e32 v52, vcc, s16, v5
	v_add_u32_e32 v5, s6, v7
	v_addc_co_u32_e32 v53, vcc, v1, v6, vcc
	v_ashrrev_i32_e32 v6, 31, v5
	v_lshlrev_b64 v[6:7], 3, v[5:6]
	v_add_co_u32_e32 v6, vcc, s16, v6
	v_addc_co_u32_e32 v7, vcc, v1, v7, vcc
	v_mov_b32_e32 v1, s23
	v_add_co_u32_e32 v31, vcc, s22, v16
	v_subrev_u32_e32 v16, s6, v0
	v_addc_co_u32_e32 v32, vcc, v1, v17, vcc
	v_ashrrev_i32_e32 v17, 31, v16
	v_lshlrev_b64 v[17:18], 3, v[16:17]
	v_mov_b32_e32 v0, s23
	v_add_co_u32_e32 v17, vcc, s22, v17
	v_addc_co_u32_e32 v18, vcc, v0, v18, vcc
	buffer_load_dword v0, off, s[36:39], 0 offset:608 ; 4-byte Folded Reload
	buffer_load_dword v1, off, s[36:39], 0 offset:612 ; 4-byte Folded Reload
	s_waitcnt vmcnt(0)
	v_mul_f64 v[36:37], v[0:1], s[0:1]
	buffer_load_dword v0, off, s[36:39], 0 offset:592 ; 4-byte Folded Reload
	buffer_load_dword v1, off, s[36:39], 0 offset:596 ; 4-byte Folded Reload
	s_waitcnt vmcnt(0)
	v_fma_f64 v[36:37], v[0:1], s[2:3], -v[36:37]
	buffer_load_dword v27, off, s[36:39], 0 offset:396 ; 4-byte Folded Reload
	buffer_load_dword v28, off, s[36:39], 0 offset:400 ; 4-byte Folded Reload
	;; [unrolled: 1-line block ×6, first 2 shown]
	v_mul_f64 v[36:37], v[42:43], v[36:37]
	s_waitcnt vmcnt(0)
	v_fma_f64 v[40:41], v[27:28], v[15:16], v[0:1]
	buffer_load_dword v0, off, s[36:39], 0 offset:508 ; 4-byte Folded Reload
	buffer_load_dword v1, off, s[36:39], 0 offset:512 ; 4-byte Folded Reload
	s_waitcnt vmcnt(0)
	v_mul_f64 v[42:43], v[0:1], s[0:1]
	buffer_load_dword v0, off, s[36:39], 0 offset:536 ; 4-byte Folded Reload
	buffer_load_dword v1, off, s[36:39], 0 offset:540 ; 4-byte Folded Reload
	s_waitcnt vmcnt(0)
	v_fma_f64 v[42:43], v[0:1], s[2:3], -v[42:43]
	buffer_load_dword v0, off, s[36:39], 0 offset:560 ; 4-byte Folded Reload
	buffer_load_dword v1, off, s[36:39], 0 offset:564 ; 4-byte Folded Reload
	v_add_f64 v[40:41], v[40:41], v[42:43]
	s_waitcnt vmcnt(0)
	v_fma_f64 v[36:37], v[27:28], v[0:1], v[36:37]
	buffer_load_dword v0, off, s[36:39], 0 offset:436 ; 4-byte Folded Reload
	buffer_load_dword v1, off, s[36:39], 0 offset:440 ; 4-byte Folded Reload
	;; [unrolled: 1-line block ×4, first 2 shown]
	s_waitcnt vmcnt(2)
	v_mul_f64 v[0:1], v[33:34], v[0:1]
	s_waitcnt vmcnt(0)
	v_mul_f64 v[15:16], v[2:3], s[0:1]
	buffer_load_dword v2, off, s[36:39], 0 offset:576 ; 4-byte Folded Reload
	buffer_load_dword v3, off, s[36:39], 0 offset:580 ; 4-byte Folded Reload
	s_waitcnt vmcnt(0)
	v_fma_f64 v[15:16], v[2:3], s[2:3], -v[15:16]
	buffer_load_dword v2, off, s[36:39], 0 offset:748 ; 4-byte Folded Reload
	buffer_load_dword v3, off, s[36:39], 0 offset:752 ; 4-byte Folded Reload
	v_mul_f64 v[15:16], v[48:49], v[15:16]
	v_mov_b32_e32 v49, v28
	v_mov_b32_e32 v48, v27
	s_waitcnt vmcnt(0)
	v_mul_f64 v[54:55], v[2:3], s[0:1]
	buffer_load_dword v2, off, s[36:39], 0 offset:732 ; 4-byte Folded Reload
	buffer_load_dword v3, off, s[36:39], 0 offset:736 ; 4-byte Folded Reload
	s_waitcnt vmcnt(0)
	v_fma_f64 v[54:55], v[2:3], s[2:3], -v[54:55]
	buffer_load_dword v2, off, s[36:39], 0 offset:836 ; 4-byte Folded Reload
	buffer_load_dword v3, off, s[36:39], 0 offset:840 ; 4-byte Folded Reload
	;; [unrolled: 1-line block ×6, first 2 shown]
	s_waitcnt vmcnt(4)
	v_mul_f64 v[0:1], v[0:1], v[2:3]
	s_waitcnt vmcnt(2)
	v_fma_f64 v[15:16], v[27:28], v[4:5], v[15:16]
	buffer_load_dword v4, off, s[36:39], 0 offset:740 ; 4-byte Folded Reload
	buffer_load_dword v5, off, s[36:39], 0 offset:744 ; 4-byte Folded Reload
	s_waitcnt vmcnt(2)
	v_mul_f64 v[25:26], v[44:45], v[25:26]
	v_mul_f64 v[0:1], v[0:1], v[54:55]
	;; [unrolled: 1-line block ×3, first 2 shown]
	v_fma_f64 v[0:1], v[48:49], v[0:1], v[36:37]
	s_waitcnt vmcnt(0)
	v_mul_f64 v[54:55], v[4:5], s[0:1]
	buffer_load_dword v4, off, s[36:39], 0 offset:668 ; 4-byte Folded Reload
	buffer_load_dword v5, off, s[36:39], 0 offset:672 ; 4-byte Folded Reload
	s_waitcnt vmcnt(0)
	v_fma_f64 v[54:55], v[4:5], s[2:3], -v[54:55]
	buffer_load_dword v4, off, s[36:39], 0 offset:552 ; 4-byte Folded Reload
	buffer_load_dword v5, off, s[36:39], 0 offset:556 ; 4-byte Folded Reload
	v_mul_f64 v[25:26], v[25:26], v[54:55]
	v_fma_f64 v[15:16], v[48:49], v[25:26], v[15:16]
	v_add_f64 v[0:1], v[0:1], -v[15:16]
	v_mul_f64 v[0:1], v[0:1], s[0:1]
	s_waitcnt vmcnt(0)
	v_mul_f64 v[56:57], v[4:5], s[0:1]
	buffer_load_dword v4, off, s[36:39], 0 offset:544 ; 4-byte Folded Reload
	buffer_load_dword v5, off, s[36:39], 0 offset:548 ; 4-byte Folded Reload
	s_waitcnt vmcnt(0)
	v_fma_f64 v[56:57], v[4:5], s[2:3], -v[56:57]
	buffer_load_dword v4, off, s[36:39], 0 offset:232 ; 4-byte Folded Reload
	buffer_load_dword v5, off, s[36:39], 0 offset:236 ; 4-byte Folded Reload
	;; [unrolled: 1-line block ×4, first 2 shown]
	v_mul_f64 v[21:22], v[21:22], v[56:57]
	s_waitcnt vmcnt(2)
	v_fma_f64 v[21:22], v[48:49], v[4:5], v[21:22]
	buffer_load_dword v4, off, s[36:39], 0 offset:264 ; 4-byte Folded Reload
	buffer_load_dword v5, off, s[36:39], 0 offset:268 ; 4-byte Folded Reload
	s_waitcnt vmcnt(2)
	v_mul_f64 v[25:26], v[50:51], v[25:26]
	v_mul_f64 v[25:26], v[25:26], v[58:59]
	s_waitcnt vmcnt(0)
	v_mul_f64 v[36:37], v[4:5], s[0:1]
	buffer_load_dword v4, off, s[36:39], 0 offset:248 ; 4-byte Folded Reload
	buffer_load_dword v5, off, s[36:39], 0 offset:252 ; 4-byte Folded Reload
	s_waitcnt vmcnt(0)
	v_fma_f64 v[36:37], v[4:5], s[2:3], -v[36:37]
	buffer_load_dword v4, off, s[36:39], 0 offset:716 ; 4-byte Folded Reload
	buffer_load_dword v5, off, s[36:39], 0 offset:720 ; 4-byte Folded Reload
	v_mul_f64 v[23:24], v[23:24], v[36:37]
	s_waitcnt vmcnt(0)
	v_mul_f64 v[42:43], v[4:5], s[0:1]
	buffer_load_dword v4, off, s[36:39], 0 offset:484 ; 4-byte Folded Reload
	buffer_load_dword v5, off, s[36:39], 0 offset:488 ; 4-byte Folded Reload
	s_waitcnt vmcnt(0)
	v_fma_f64 v[42:43], v[4:5], s[2:3], -v[42:43]
	buffer_load_dword v4, off, s[36:39], 0 offset:216 ; 4-byte Folded Reload
	buffer_load_dword v5, off, s[36:39], 0 offset:220 ; 4-byte Folded Reload
	buffer_load_dword v27, off, s[36:39], 0 offset:80 ; 4-byte Folded Reload
	buffer_load_dword v28, off, s[36:39], 0 offset:84 ; 4-byte Folded Reload
	v_mul_f64 v[25:26], v[25:26], v[42:43]
	v_fma_f64 v[21:22], v[48:49], v[25:26], v[21:22]
	s_waitcnt vmcnt(2)
	v_fma_f64 v[23:24], v[48:49], v[4:5], v[23:24]
	buffer_load_dword v4, off, s[36:39], 0 offset:676 ; 4-byte Folded Reload
	buffer_load_dword v5, off, s[36:39], 0 offset:680 ; 4-byte Folded Reload
	s_waitcnt vmcnt(2)
	v_mul_f64 v[36:37], v[62:63], v[27:28]
	v_mul_f64 v[36:37], v[36:37], v[60:61]
	s_waitcnt vmcnt(0)
	v_mul_f64 v[42:43], v[4:5], s[0:1]
	buffer_load_dword v4, off, s[36:39], 0 offset:208 ; 4-byte Folded Reload
	buffer_load_dword v5, off, s[36:39], 0 offset:212 ; 4-byte Folded Reload
	buffer_load_dword v27, off, s[36:39], 0 offset:520 ; 4-byte Folded Reload
	buffer_load_dword v28, off, s[36:39], 0 offset:524 ; 4-byte Folded Reload
	s_waitcnt vmcnt(2)
	v_fma_f64 v[42:43], v[4:5], s[2:3], -v[42:43]
	v_mul_f64 v[36:37], v[36:37], v[42:43]
	s_waitcnt vmcnt(0)
	v_mul_f64 v[42:43], v[27:28], s[0:1]
	buffer_load_dword v27, off, s[36:39], 0 offset:528 ; 4-byte Folded Reload
	buffer_load_dword v28, off, s[36:39], 0 offset:532 ; 4-byte Folded Reload
	v_fma_f64 v[23:24], v[48:49], v[36:37], v[23:24]
	v_add_f64 v[15:16], v[21:22], -v[23:24]
	global_load_dwordx2 v[21:22], v[31:32], off
	buffer_load_dword v4, off, s[36:39], 0 offset:24 ; 4-byte Folded Reload
	buffer_load_dword v5, off, s[36:39], 0 offset:28 ; 4-byte Folded Reload
	s_waitcnt vmcnt(3)
	v_fma_f64 v[42:43], v[27:28], s[2:3], -v[42:43]
	v_add_f64 v[40:41], v[42:43], v[40:41]
	s_waitcnt vmcnt(0)
	v_mul_f64 v[23:24], v[4:5], v[21:22]
	buffer_load_dword v21, off, s[36:39], 0 offset:380 ; 4-byte Folded Reload
	buffer_load_dword v22, off, s[36:39], 0 offset:384 ; 4-byte Folded Reload
	;; [unrolled: 1-line block ×4, first 2 shown]
	s_waitcnt vmcnt(0)
	v_mul_f64 v[25:26], v[21:22], v[25:26]
	v_fma_f64 v[21:22], v[15:16], s[2:3], -v[0:1]
	buffer_load_dword v0, off, s[36:39], 0 offset:184 ; 4-byte Folded Reload
	buffer_load_dword v1, off, s[36:39], 0 offset:188 ; 4-byte Folded Reload
	;; [unrolled: 1-line block ×4, first 2 shown]
	s_waitcnt vmcnt(0)
	v_add_f64 v[36:37], v[0:1], -v[4:5]
	buffer_load_dword v0, off, s[36:39], 0 offset:620 ; 4-byte Folded Reload
	buffer_load_dword v1, off, s[36:39], 0 offset:624 ; 4-byte Folded Reload
	;; [unrolled: 1-line block ×4, first 2 shown]
	s_waitcnt vmcnt(0)
	v_add_f64 v[42:43], v[0:1], -v[4:5]
	buffer_load_dword v0, off, s[36:39], 0 offset:16 ; 4-byte Folded Reload
	buffer_load_dword v1, off, s[36:39], 0 offset:20 ; 4-byte Folded Reload
	s_waitcnt vmcnt(0)
	v_mul_f64 v[31:32], v[0:1], v[23:24]
	buffer_load_dword v0, off, s[36:39], 0 offset:472 ; 4-byte Folded Reload
	buffer_load_dword v1, off, s[36:39], 0 offset:476 ; 4-byte Folded Reload
	;; [unrolled: 1-line block ×4, first 2 shown]
	v_mul_f64 v[23:24], v[25:26], v[2:3]
	buffer_load_dword v15, off, s[36:39], 0 offset:64 ; 4-byte Folded Reload
	buffer_load_dword v16, off, s[36:39], 0 offset:68 ; 4-byte Folded Reload
	;; [unrolled: 1-line block ×4, first 2 shown]
	s_waitcnt vmcnt(4)
	v_add_f64 v[0:1], v[0:1], -v[4:5]
	buffer_load_dword v2, off, s[36:39], 0 offset:428 ; 4-byte Folded Reload
	buffer_load_dword v3, off, s[36:39], 0 offset:432 ; 4-byte Folded Reload
	;; [unrolled: 1-line block ×4, first 2 shown]
	s_nop 0
	global_load_dwordx2 v[13:14], v[13:14], off
	s_nop 0
	global_load_dwordx2 v[8:9], v[9:10], off
	s_waitcnt vmcnt(6)
	v_mul_f64 v[15:16], v[15:16], v[25:26]
	v_mul_f64 v[0:1], v[0:1], s[0:1]
	;; [unrolled: 1-line block ×3, first 2 shown]
	s_waitcnt vmcnt(2)
	v_add_f64 v[25:26], v[2:3], -v[4:5]
	s_waitcnt vmcnt(0)
	v_add_f64 v[27:28], v[13:14], -v[8:9]
	v_mul_f64 v[25:26], v[25:26], s[0:1]
	v_fma_f64 v[27:28], v[27:28], s[2:3], -v[0:1]
	buffer_load_dword v0, off, s[36:39], 0 offset:48 ; 4-byte Folded Reload
	buffer_load_dword v1, off, s[36:39], 0 offset:52 ; 4-byte Folded Reload
	buffer_load_dword v33, off, s[36:39], 0 offset:56 ; 4-byte Folded Reload
	buffer_load_dword v34, off, s[36:39], 0 offset:60 ; 4-byte Folded Reload
	buffer_load_dword v2, off, s[36:39], 0 offset:420 ; 4-byte Folded Reload
	buffer_load_dword v3, off, s[36:39], 0 offset:424 ; 4-byte Folded Reload
	buffer_load_dword v4, off, s[36:39], 0 offset:348 ; 4-byte Folded Reload
	buffer_load_dword v5, off, s[36:39], 0 offset:352 ; 4-byte Folded Reload
	s_nop 0
	global_load_dwordx2 v[19:20], v[19:20], off
	s_nop 0
	global_load_dwordx2 v[10:11], v[11:12], off
	s_waitcnt vmcnt(6)
	v_mul_f64 v[0:1], v[0:1], v[33:34]
	s_waitcnt vmcnt(1)
	v_add_f64 v[12:13], v[13:14], -v[19:20]
	s_waitcnt vmcnt(0)
	v_add_f64 v[19:20], v[19:20], -v[10:11]
	v_add_f64 v[44:45], v[2:3], -v[4:5]
	v_fma_f64 v[19:20], v[19:20], s[2:3], -v[25:26]
	v_mul_f64 v[25:26], v[0:1], v[58:59]
	buffer_load_dword v0, off, s[36:39], 0 offset:32 ; 4-byte Folded Reload
	buffer_load_dword v1, off, s[36:39], 0 offset:36 ; 4-byte Folded Reload
	;; [unrolled: 1-line block ×8, first 2 shown]
	s_nop 0
	global_load_dwordx2 v[38:39], v[38:39], off
	s_nop 0
	global_load_dwordx2 v[46:47], v[29:30], off
	v_mul_f64 v[19:20], v[15:16], v[19:20]
	v_add_f64 v[14:15], v[8:9], -v[10:11]
	v_mul_f64 v[14:15], v[14:15], s[0:1]
	s_waitcnt vmcnt(6)
	v_mul_f64 v[0:1], v[0:1], v[33:34]
	s_waitcnt vmcnt(2)
	v_add_f64 v[33:34], v[2:3], -v[4:5]
	v_mul_f64 v[2:3], v[44:45], s[0:1]
	s_waitcnt vmcnt(0)
	v_add_f64 v[4:5], v[38:39], -v[46:47]
	v_mul_f64 v[33:34], v[33:34], s[0:1]
	v_fma_f64 v[2:3], v[4:5], s[2:3], -v[2:3]
	v_mul_f64 v[4:5], v[0:1], v[60:61]
	global_load_dwordx2 v[0:1], v[52:53], off
	global_load_dwordx2 v[29:30], v[6:7], off
	s_waitcnt vmcnt(1)
	v_add_f64 v[6:7], v[38:39], -v[0:1]
	s_waitcnt vmcnt(0)
	v_add_f64 v[0:1], v[0:1], -v[29:30]
	v_fma_f64 v[33:34], v[0:1], s[2:3], -v[33:34]
	v_mul_f64 v[0:1], v[12:13], s[0:1]
	v_mul_f64 v[12:13], v[23:24], v[27:28]
	;; [unrolled: 1-line block ×4, first 2 shown]
	v_fma_f64 v[0:1], v[6:7], s[2:3], -v[0:1]
	global_load_dwordx2 v[4:5], v[17:18], off
	buffer_load_dword v6, off, s[36:39], 0 offset:8 ; 4-byte Folded Reload
	buffer_load_dword v7, off, s[36:39], 0 offset:12 ; 4-byte Folded Reload
	v_mov_b32_e32 v17, s27
	s_waitcnt vmcnt(0)
	v_mul_f64 v[6:7], v[6:7], v[4:5]
	buffer_load_dword v27, off, s[36:39], 0 offset:144 ; 4-byte Folded Reload
	buffer_load_dword v28, off, s[36:39], 0 offset:148 ; 4-byte Folded Reload
	;; [unrolled: 1-line block ×4, first 2 shown]
	s_waitcnt vmcnt(0)
	v_fma_f64 v[8:9], v[27:28], v[4:5], v[12:13]
	buffer_load_dword v4, off, s[36:39], 0 offset:316 ; 4-byte Folded Reload
	buffer_load_dword v5, off, s[36:39], 0 offset:320 ; 4-byte Folded Reload
	v_add_f64 v[12:13], v[46:47], -v[29:30]
	s_waitcnt vmcnt(0)
	v_fma_f64 v[10:11], v[27:28], v[4:5], v[19:20]
	buffer_load_dword v4, off, s[36:39], 0 offset:324 ; 4-byte Folded Reload
	buffer_load_dword v5, off, s[36:39], 0 offset:328 ; 4-byte Folded Reload
	;; [unrolled: 1-line block ×4, first 2 shown]
	v_add_f64 v[8:9], v[8:9], -v[10:11]
	s_waitcnt vmcnt(1)
	v_add_co_u32_e32 v16, vcc, s26, v18
	s_waitcnt vmcnt(0)
	v_addc_co_u32_e32 v17, vcc, v17, v19, vcc
	global_load_dwordx2 v[18:19], v[16:17], off
	buffer_load_dword v25, off, s[36:39], 0 offset:136 ; 4-byte Folded Reload
	buffer_load_dword v26, off, s[36:39], 0 offset:140 ; 4-byte Folded Reload
	;; [unrolled: 1-line block ×4, first 2 shown]
	v_fma_f64 v[4:5], v[27:28], v[4:5], v[23:24]
	v_mul_f64 v[23:24], v[36:37], s[0:1]
	s_waitcnt vmcnt(2)
	v_mul_f64 v[25:26], v[27:28], v[25:26]
	s_waitcnt vmcnt(0)
	v_fma_f64 v[2:3], v[27:28], v[29:30], v[2:3]
	buffer_load_dword v29, off, s[36:39], 0 offset:192 ; 4-byte Folded Reload
	buffer_load_dword v30, off, s[36:39], 0 offset:196 ; 4-byte Folded Reload
	buffer_load_dword v10, off, s[36:39], 0 ; 4-byte Folded Reload
	buffer_load_dword v11, off, s[36:39], 0 offset:4 ; 4-byte Folded Reload
	v_fma_f64 v[0:1], v[0:1], v[31:32], v[25:26]
	v_add_f64 v[2:3], v[4:5], -v[2:3]
	v_mul_f64 v[4:5], v[8:9], s[0:1]
	v_fma_f64 v[2:3], v[2:3], s[2:3], -v[4:5]
	s_waitcnt vmcnt(2)
	v_mul_f64 v[27:28], v[27:28], v[29:30]
	s_waitcnt vmcnt(0)
	v_mul_f64 v[6:7], v[10:11], v[6:7]
	v_fma_f64 v[10:11], v[12:13], s[2:3], -v[14:15]
	v_add_f64 v[12:13], v[40:41], v[21:22]
	buffer_load_dword v8, off, s[36:39], 0 offset:404 ; 4-byte Folded Reload
	buffer_load_dword v9, off, s[36:39], 0 offset:408 ; 4-byte Folded Reload
	;; [unrolled: 1-line block ×4, first 2 shown]
	v_fma_f64 v[14:15], v[42:43], s[2:3], -v[23:24]
	v_fma_f64 v[6:7], v[10:11], v[6:7], v[27:28]
	v_fma_f64 v[10:11], v[48:49], v[14:15], v[12:13]
	v_add_f64 v[0:1], v[0:1], -v[6:7]
	v_add_f64 v[2:3], v[10:11], v[2:3]
	s_waitcnt vmcnt(0)
	v_add_f64 v[8:9], v[8:9], -v[20:21]
	v_mul_f64 v[4:5], v[8:9], s[0:1]
	v_fma_f64 v[0:1], v[0:1], s[2:3], -v[4:5]
	v_add_f64 v[0:1], v[2:3], v[0:1]
	buffer_load_dword v2, off, s[36:39], 0 offset:272 ; 4-byte Folded Reload
	buffer_load_dword v3, off, s[36:39], 0 offset:276 ; 4-byte Folded Reload
	buffer_load_dword v4, off, s[36:39], 0 offset:280 ; 4-byte Folded Reload
	buffer_load_dword v5, off, s[36:39], 0 offset:284 ; 4-byte Folded Reload
	buffer_load_dword v6, off, s[36:39], 0 offset:288 ; 4-byte Folded Reload
	buffer_load_dword v7, off, s[36:39], 0 offset:292 ; 4-byte Folded Reload
	v_mul_f64 v[0:1], s[14:15], v[0:1]
	s_waitcnt vmcnt(0)
	v_div_fixup_f64 v[2:3], v[6:7], v[4:5], v[2:3]
	v_mul_f64 v[0:1], v[2:3], v[0:1]
	v_fma_f64 v[0:1], s[12:13], v[18:19], v[0:1]
	global_store_dwordx2 v[16:17], v[0:1], off
.LBB1_2:
	s_endpgm
	.section	.rodata,"a",@progbits
	.p2align	6, 0x0
	.amdhsa_kernel _Z7kernel2iiiiiiiiiiiiddPKdS0_S0_S0_S0_PdS0_S0_S0_S0_S0_S0_S0_
		.amdhsa_group_segment_fixed_size 0
		.amdhsa_private_segment_fixed_size 1124
		.amdhsa_kernarg_size 424
		.amdhsa_user_sgpr_count 6
		.amdhsa_user_sgpr_private_segment_buffer 1
		.amdhsa_user_sgpr_dispatch_ptr 0
		.amdhsa_user_sgpr_queue_ptr 0
		.amdhsa_user_sgpr_kernarg_segment_ptr 1
		.amdhsa_user_sgpr_dispatch_id 0
		.amdhsa_user_sgpr_flat_scratch_init 0
		.amdhsa_user_sgpr_private_segment_size 0
		.amdhsa_uses_dynamic_stack 0
		.amdhsa_system_sgpr_private_segment_wavefront_offset 1
		.amdhsa_system_sgpr_workgroup_id_x 1
		.amdhsa_system_sgpr_workgroup_id_y 1
		.amdhsa_system_sgpr_workgroup_id_z 1
		.amdhsa_system_sgpr_workgroup_info 0
		.amdhsa_system_vgpr_workitem_id 2
		.amdhsa_next_free_vgpr 64
		.amdhsa_next_free_sgpr 40
		.amdhsa_reserve_vcc 1
		.amdhsa_reserve_flat_scratch 0
		.amdhsa_float_round_mode_32 0
		.amdhsa_float_round_mode_16_64 0
		.amdhsa_float_denorm_mode_32 3
		.amdhsa_float_denorm_mode_16_64 3
		.amdhsa_dx10_clamp 1
		.amdhsa_ieee_mode 1
		.amdhsa_fp16_overflow 0
		.amdhsa_exception_fp_ieee_invalid_op 0
		.amdhsa_exception_fp_denorm_src 0
		.amdhsa_exception_fp_ieee_div_zero 0
		.amdhsa_exception_fp_ieee_overflow 0
		.amdhsa_exception_fp_ieee_underflow 0
		.amdhsa_exception_fp_ieee_inexact 0
		.amdhsa_exception_int_div_zero 0
	.end_amdhsa_kernel
	.text
.Lfunc_end1:
	.size	_Z7kernel2iiiiiiiiiiiiddPKdS0_S0_S0_S0_PdS0_S0_S0_S0_S0_S0_S0_, .Lfunc_end1-_Z7kernel2iiiiiiiiiiiiddPKdS0_S0_S0_S0_PdS0_S0_S0_S0_S0_S0_S0_
                                        ; -- End function
	.set _Z7kernel2iiiiiiiiiiiiddPKdS0_S0_S0_S0_PdS0_S0_S0_S0_S0_S0_S0_.num_vgpr, 64
	.set _Z7kernel2iiiiiiiiiiiiddPKdS0_S0_S0_S0_PdS0_S0_S0_S0_S0_S0_S0_.num_agpr, 0
	.set _Z7kernel2iiiiiiiiiiiiddPKdS0_S0_S0_S0_PdS0_S0_S0_S0_S0_S0_S0_.numbered_sgpr, 40
	.set _Z7kernel2iiiiiiiiiiiiddPKdS0_S0_S0_S0_PdS0_S0_S0_S0_S0_S0_S0_.num_named_barrier, 0
	.set _Z7kernel2iiiiiiiiiiiiddPKdS0_S0_S0_S0_PdS0_S0_S0_S0_S0_S0_S0_.private_seg_size, 1124
	.set _Z7kernel2iiiiiiiiiiiiddPKdS0_S0_S0_S0_PdS0_S0_S0_S0_S0_S0_S0_.uses_vcc, 1
	.set _Z7kernel2iiiiiiiiiiiiddPKdS0_S0_S0_S0_PdS0_S0_S0_S0_S0_S0_S0_.uses_flat_scratch, 0
	.set _Z7kernel2iiiiiiiiiiiiddPKdS0_S0_S0_S0_PdS0_S0_S0_S0_S0_S0_S0_.has_dyn_sized_stack, 0
	.set _Z7kernel2iiiiiiiiiiiiddPKdS0_S0_S0_S0_PdS0_S0_S0_S0_S0_S0_S0_.has_recursion, 0
	.set _Z7kernel2iiiiiiiiiiiiddPKdS0_S0_S0_S0_PdS0_S0_S0_S0_S0_S0_S0_.has_indirect_call, 0
	.section	.AMDGPU.csdata,"",@progbits
; Kernel info:
; codeLenInByte = 18936
; TotalNumSgprs: 44
; NumVgprs: 64
; ScratchSize: 1124
; MemoryBound: 0
; FloatMode: 240
; IeeeMode: 1
; LDSByteSize: 0 bytes/workgroup (compile time only)
; SGPRBlocks: 5
; VGPRBlocks: 15
; NumSGPRsForWavesPerEU: 44
; NumVGPRsForWavesPerEU: 64
; Occupancy: 4
; WaveLimiterHint : 0
; COMPUTE_PGM_RSRC2:SCRATCH_EN: 1
; COMPUTE_PGM_RSRC2:USER_SGPR: 6
; COMPUTE_PGM_RSRC2:TRAP_HANDLER: 0
; COMPUTE_PGM_RSRC2:TGID_X_EN: 1
; COMPUTE_PGM_RSRC2:TGID_Y_EN: 1
; COMPUTE_PGM_RSRC2:TGID_Z_EN: 1
; COMPUTE_PGM_RSRC2:TIDIG_COMP_CNT: 2
	.text
	.protected	_Z7kernel3iiiiiiiiiiiiddPKdS0_S0_S0_S0_PdS0_S0_S0_S0_S0_S0_S0_ ; -- Begin function _Z7kernel3iiiiiiiiiiiiddPKdS0_S0_S0_S0_PdS0_S0_S0_S0_S0_S0_S0_
	.globl	_Z7kernel3iiiiiiiiiiiiddPKdS0_S0_S0_S0_PdS0_S0_S0_S0_S0_S0_S0_
	.p2align	8
	.type	_Z7kernel3iiiiiiiiiiiiddPKdS0_S0_S0_S0_PdS0_S0_S0_S0_S0_S0_S0_,@function
_Z7kernel3iiiiiiiiiiiiddPKdS0_S0_S0_S0_PdS0_S0_S0_S0_S0_S0_S0_: ; @_Z7kernel3iiiiiiiiiiiiddPKdS0_S0_S0_S0_PdS0_S0_S0_S0_S0_S0_S0_
; %bb.0:
	s_mov_b64 s[30:31], s[2:3]
	s_mov_b64 s[28:29], s[0:1]
	s_load_dwordx2 s[0:1], s[4:5], 0xb4
	s_load_dwordx8 s[12:19], s[4:5], 0x0
	s_add_u32 s28, s28, s9
	s_addc_u32 s29, s29, 0
	s_waitcnt lgkmcnt(0)
	s_lshr_b32 s2, s0, 16
	s_and_b32 s0, s0, 0xffff
	s_mul_i32 s0, s6, s0
	s_add_i32 s0, s0, s12
	v_add_u32_e32 v18, s0, v0
	s_mul_i32 s0, s7, s2
	s_and_b32 s1, s1, 0xffff
	s_add_i32 s0, s0, s14
	v_add_u32_e32 v17, s0, v1
	s_mul_i32 s0, s8, s1
	s_add_i32 s0, s0, s16
	v_add_u32_e32 v14, s0, v2
	v_cmp_gt_i32_e32 vcc, s13, v18
	v_cmp_gt_i32_e64 s[0:1], s15, v17
	s_and_b64 s[0:1], vcc, s[0:1]
	v_cmp_gt_i32_e32 vcc, s17, v14
	s_and_b64 s[0:1], s[0:1], vcc
	s_and_saveexec_b64 s[2:3], s[0:1]
	s_cbranch_execz .LBB2_2
; %bb.1:
	s_load_dwordx4 s[0:3], s[4:5], 0x98
	s_load_dwordx4 s[24:27], s[4:5], 0x60
	s_load_dwordx8 s[8:15], s[4:5], 0x20
	v_subrev_u32_e32 v0, s18, v18
	v_ashrrev_i32_e32 v1, 31, v0
	v_lshlrev_b64 v[0:1], 3, v[0:1]
	s_waitcnt lgkmcnt(0)
	v_mov_b32_e32 v2, s1
	v_add_co_u32_e32 v6, vcc, s0, v0
	v_subrev_u32_e32 v0, s8, v17
	v_addc_co_u32_e32 v7, vcc, v2, v1, vcc
	v_ashrrev_i32_e32 v1, 31, v0
	s_sub_i32 s7, s19, s18
	s_sub_i32 s1, s9, s8
	v_lshlrev_b64 v[0:1], 3, v[0:1]
	s_not_b32 s0, s7
	s_add_i32 s7, s7, 1
	s_add_i32 s9, s1, 1
	s_mul_i32 s9, s9, s7
	v_mov_b32_e32 v2, s3
	v_add_co_u32_e32 v28, vcc, s2, v0
	s_mul_i32 s1, s9, s10
	v_mul_lo_u32 v3, v17, s7
	v_addc_co_u32_e32 v29, vcc, v2, v1, vcc
	s_mul_i32 s0, s8, s0
	s_add_i32 s1, s18, s1
	v_mul_lo_u32 v2, v14, s9
	s_sub_i32 s0, s0, s1
	v_add_u32_e32 v15, s0, v18
	v_add_u32_e32 v46, v3, v15
	;; [unrolled: 1-line block ×3, first 2 shown]
	v_ashrrev_i32_e32 v1, 31, v0
	v_lshlrev_b64 v[20:21], 3, v[0:1]
	v_mov_b32_e32 v1, s25
	v_add_co_u32_e32 v0, vcc, s24, v20
	v_addc_co_u32_e32 v1, vcc, v1, v21, vcc
	global_load_dwordx2 v[34:35], v[0:1], off
	global_load_dwordx4 v[48:51], v[28:29], off
	global_load_dwordx4 v[54:57], v[6:7], off
	s_sub_i32 s1, s11, s10
	s_add_i32 s6, s1, 1
	s_mul_i32 s6, s6, s9
	s_sub_i32 s8, s0, s6
	v_add3_u32 v19, v2, v3, s0
	s_ashr_i32 s0, s8, 31
	v_ashrrev_i32_e32 v8, 31, v18
	s_ashr_i32 s1, s6, 31
	v_add_co_u32_e32 v1, vcc, s8, v18
	v_mov_b32_e32 v10, s0
	v_ashrrev_i32_e32 v9, 31, v3
	v_mov_b32_e32 v26, s1
	v_mov_b32_e32 v42, v2
	v_add_co_u32_e64 v12, s[0:1], v1, v3
	v_addc_co_u32_e32 v10, vcc, v8, v10, vcc
	v_add_u32_e32 v0, -2, v18
	v_add_u32_e32 v4, -1, v18
	v_add_u32_e32 v5, 1, v18
	v_add_co_u32_e32 v12, vcc, v12, v42
	v_addc_co_u32_e64 v27, s[0:1], v10, v9, s[0:1]
	s_load_dwordx8 s[16:23], s[4:5], 0x40
	v_add_co_u32_e64 v10, s[0:1], s6, v12
	v_add_u32_e32 v16, s8, v18
	s_lshl_b32 s10, s6, 1
	v_add_u32_e32 v47, v3, v16
	s_ashr_i32 s2, s10, 31
	v_add_u32_e32 v58, v47, v42
	v_mov_b32_e32 v22, s2
	v_ashrrev_i32_e32 v23, 31, v58
	v_add_co_u32_e64 v8, s[2:3], s10, v58
	v_addc_co_u32_e64 v9, s[2:3], v23, v22, s[2:3]
	s_waitcnt lgkmcnt(0)
	v_mov_b32_e32 v11, s19
	v_ashrrev_i32_e32 v24, 31, v2
	v_add_u32_e32 v2, v19, v4
	v_ashrrev_i32_e32 v3, 31, v2
	v_lshlrev_b64 v[2:3], 3, v[2:3]
	v_mov_b32_e32 v25, s19
	v_mov_b32_e32 v31, s19
	;; [unrolled: 1-line block ×4, first 2 shown]
	s_waitcnt vmcnt(2)
	buffer_store_dword v34, off, s[28:31], 0 offset:176 ; 4-byte Folded Spill
	s_nop 0
	buffer_store_dword v35, off, s[28:31], 0 offset:180 ; 4-byte Folded Spill
	buffer_store_dword v0, off, s[28:31], 0 offset:244 ; 4-byte Folded Spill
	s_waitcnt vmcnt(3)
	v_mul_f64 v[36:37], v[54:55], v[48:49]
	buffer_store_dword v4, off, s[28:31], 0 offset:220 ; 4-byte Folded Spill
	buffer_store_dword v5, off, s[28:31], 0 offset:236 ; 4-byte Folded Spill
	v_add_u32_e32 v0, v19, v0
	v_ashrrev_i32_e32 v1, 31, v0
	v_lshlrev_b64 v[0:1], 3, v[0:1]
	v_add_u32_e32 v4, v19, v5
	v_add_co_u32_e64 v22, s[2:3], s18, v0
	v_addc_co_u32_e64 v23, s[2:3], v11, v1, s[2:3]
	v_div_scale_f64 v[0:1], s[2:3], v[48:49], v[48:49], 1.0
	v_addc_co_u32_e32 v11, vcc, v27, v24, vcc
	v_addc_co_u32_e64 v11, s[0:1], v11, v26, s[0:1]
	v_add_co_u32_e32 v24, vcc, s18, v2
	v_ashrrev_i32_e32 v5, 31, v4
	v_addc_co_u32_e32 v25, vcc, v25, v3, vcc
	v_lshlrev_b64 v[2:3], 3, v[8:9]
	v_lshlrev_b64 v[4:5], 3, v[4:5]
	v_add_co_u32_e32 v30, vcc, s18, v4
	v_rcp_f64_e32 v[8:9], v[0:1]
	v_addc_co_u32_e32 v31, vcc, v31, v5, vcc
	v_lshlrev_b64 v[4:5], 3, v[10:11]
	v_add_co_u32_e32 v2, vcc, s16, v2
	v_addc_co_u32_e32 v3, vcc, v32, v3, vcc
	v_add_co_u32_e32 v10, vcc, s22, v4
	v_addc_co_u32_e32 v11, vcc, v33, v5, vcc
	v_fma_f64 v[32:33], -v[0:1], v[8:9], 1.0
	v_fma_f64 v[8:9], v[8:9], v[32:33], v[8:9]
	v_div_scale_f64 v[12:13], s[4:5], v[34:35], v[34:35], v[36:37]
	buffer_store_dword v36, off, s[28:31], 0 offset:168 ; 4-byte Folded Spill
	s_nop 0
	buffer_store_dword v37, off, s[28:31], 0 offset:172 ; 4-byte Folded Spill
	s_mov_b32 s4, 0
	s_mov_b32 s5, 0xbfe80000
	v_rcp_f64_e32 v[26:27], v[12:13]
	v_fma_f64 v[4:5], -v[12:13], v[26:27], 1.0
	v_fma_f64 v[4:5], v[26:27], v[4:5], v[26:27]
	v_fma_f64 v[26:27], -v[12:13], v[4:5], 1.0
	v_fma_f64 v[4:5], v[4:5], v[26:27], v[4:5]
	v_fma_f64 v[26:27], -v[0:1], v[8:9], 1.0
	v_fma_f64 v[8:9], v[8:9], v[26:27], v[8:9]
	v_div_scale_f64 v[32:33], vcc, v[36:37], v[34:35], v[36:37]
	v_mul_f64 v[26:27], v[32:33], v[4:5]
	v_fma_f64 v[12:13], -v[12:13], v[26:27], v[32:33]
	v_div_scale_f64 v[32:33], s[0:1], 1.0, v[48:49], 1.0
	s_nop 0
	v_div_fmas_f64 v[4:5], v[12:13], v[4:5], v[26:27]
	buffer_store_dword v4, off, s[28:31], 0 offset:184 ; 4-byte Folded Spill
	s_nop 0
	buffer_store_dword v5, off, s[28:31], 0 offset:188 ; 4-byte Folded Spill
	v_div_scale_f64 v[4:5], s[2:3], v[54:55], v[54:55], 1.0
	v_mul_f64 v[12:13], v[32:33], v[8:9]
	s_mov_b64 vcc, s[0:1]
	s_mov_b32 s2, 0
	s_mov_b32 s3, 0x40080000
	;; [unrolled: 1-line block ×4, first 2 shown]
	v_fma_f64 v[0:1], -v[0:1], v[12:13], v[32:33]
	v_rcp_f64_e32 v[26:27], v[4:5]
	v_div_fmas_f64 v[0:1], v[0:1], v[8:9], v[12:13]
	buffer_store_dword v0, off, s[28:31], 0 offset:252 ; 4-byte Folded Spill
	s_nop 0
	buffer_store_dword v1, off, s[28:31], 0 offset:256 ; 4-byte Folded Spill
	v_fma_f64 v[32:33], -v[4:5], v[26:27], 1.0
	v_div_scale_f64 v[0:1], vcc, 1.0, v[54:55], 1.0
	v_fma_f64 v[26:27], v[26:27], v[32:33], v[26:27]
	v_fma_f64 v[8:9], -v[4:5], v[26:27], 1.0
	v_fma_f64 v[8:9], v[26:27], v[8:9], v[26:27]
	v_mul_f64 v[12:13], v[0:1], v[8:9]
	v_fma_f64 v[0:1], -v[4:5], v[12:13], v[0:1]
	v_mov_b32_e32 v4, s19
	v_mov_b32_e32 v5, s23
	v_div_fmas_f64 v[0:1], v[0:1], v[8:9], v[12:13]
	buffer_store_dword v0, off, s[28:31], 0 offset:260 ; 4-byte Folded Spill
	s_nop 0
	buffer_store_dword v1, off, s[28:31], 0 offset:264 ; 4-byte Folded Spill
	global_load_dwordx2 v[32:33], v[22:23], off
	v_add_co_u32_e32 v8, vcc, s18, v20
	v_addc_co_u32_e32 v9, vcc, v4, v21, vcc
	v_add_u32_e32 v12, s6, v58
	v_ashrrev_i32_e32 v13, 31, v12
	v_lshlrev_b64 v[0:1], 3, v[12:13]
	v_add_u32_e32 v12, s6, v12
	v_add_co_u32_e32 v4, vcc, s22, v0
	v_addc_co_u32_e32 v5, vcc, v5, v1, vcc
	v_ashrrev_i32_e32 v13, 31, v12
	v_lshlrev_b64 v[44:45], 3, v[12:13]
	v_mov_b32_e32 v13, s17
	v_add_co_u32_e32 v12, vcc, s16, v44
	v_addc_co_u32_e32 v13, vcc, v13, v45, vcc
	s_waitcnt vmcnt(0)
	buffer_store_dword v32, off, s[28:31], 0 offset:464 ; 4-byte Folded Spill
	s_nop 0
	buffer_store_dword v33, off, s[28:31], 0 offset:468 ; 4-byte Folded Spill
	global_load_dwordx2 v[26:27], v[24:25], off
	s_waitcnt vmcnt(0)
	buffer_store_dword v26, off, s[28:31], 0 offset:228 ; 4-byte Folded Spill
	s_nop 0
	buffer_store_dword v27, off, s[28:31], 0 offset:232 ; 4-byte Folded Spill
	global_load_dwordx2 v[34:35], v[8:9], off
	global_load_dwordx4 v[22:25], v[10:11], off offset:-16
	s_waitcnt vmcnt(0)
	buffer_store_dword v22, off, s[28:31], 0 offset:472 ; 4-byte Folded Spill
	s_nop 0
	buffer_store_dword v23, off, s[28:31], 0 offset:476 ; 4-byte Folded Spill
	buffer_store_dword v24, off, s[28:31], 0 offset:480 ; 4-byte Folded Spill
	buffer_store_dword v25, off, s[28:31], 0 offset:484 ; 4-byte Folded Spill
	global_load_dwordx2 v[10:11], v[30:31], off
	v_mov_b32_e32 v53, v35
	v_mov_b32_e32 v52, v34
	s_waitcnt vmcnt(0)
	buffer_store_dword v10, off, s[28:31], 0 offset:580 ; 4-byte Folded Spill
	s_nop 0
	buffer_store_dword v11, off, s[28:31], 0 offset:584 ; 4-byte Folded Spill
	v_mul_f64 v[8:9], v[32:33], v[22:23]
	global_load_dwordx4 v[30:33], v[4:5], off
	v_mul_f64 v[38:39], v[22:23], v[8:9]
	s_waitcnt vmcnt(0)
	v_mul_f64 v[10:11], v[10:11], v[32:33]
	v_mul_f64 v[8:9], v[34:35], v[30:31]
	v_mov_b32_e32 v37, v33
	v_mov_b32_e32 v36, v32
	v_mov_b32_e32 v35, v31
	v_mov_b32_e32 v34, v30
	v_mul_f64 v[22:23], v[32:33], v[10:11]
	v_mul_f64 v[8:9], v[30:31], v[8:9]
	;; [unrolled: 1-line block ×3, first 2 shown]
	v_mov_b32_e32 v41, v23
	v_mov_b32_e32 v40, v22
	v_mul_f64 v[26:27], v[24:25], v[10:11]
	v_mul_f64 v[8:9], v[54:55], v[8:9]
	;; [unrolled: 1-line block ×3, first 2 shown]
	buffer_store_dword v54, off, s[28:31], 0 offset:120 ; 4-byte Folded Spill
	s_nop 0
	buffer_store_dword v55, off, s[28:31], 0 offset:124 ; 4-byte Folded Spill
	buffer_store_dword v56, off, s[28:31], 0 offset:128 ; 4-byte Folded Spill
	;; [unrolled: 1-line block ×4, first 2 shown]
	s_nop 0
	buffer_store_dword v41, off, s[28:31], 0 offset:544 ; 4-byte Folded Spill
	global_load_dwordx4 v[30:33], v[6:7], off offset:-16
	s_waitcnt vmcnt(0)
	buffer_store_dword v30, off, s[28:31], 0 offset:372 ; 4-byte Folded Spill
	s_nop 0
	buffer_store_dword v31, off, s[28:31], 0 offset:376 ; 4-byte Folded Spill
	buffer_store_dword v32, off, s[28:31], 0 offset:380 ; 4-byte Folded Spill
	;; [unrolled: 1-line block ×4, first 2 shown]
	s_nop 0
	buffer_store_dword v39, off, s[28:31], 0 offset:536 ; 4-byte Folded Spill
	buffer_store_dword v26, off, s[28:31], 0 offset:268 ; 4-byte Folded Spill
	s_nop 0
	buffer_store_dword v27, off, s[28:31], 0 offset:272 ; 4-byte Folded Spill
	global_load_dwordx4 v[59:62], v[12:13], off offset:-8
	v_fma_f64 v[22:23], v[30:31], v[38:39], v[10:11]
	global_load_dwordx2 v[2:3], v[2:3], off offset:-16
	v_fma_f64 v[24:25], v[32:33], v[26:27], v[8:9]
	v_fma_f64 v[22:23], v[24:25], s[2:3], v[22:23]
	s_waitcnt vmcnt(1)
	v_add_f64 v[24:25], v[59:60], -v[61:62]
	v_mul_f64 v[22:23], v[22:23], v[24:25]
	v_mul_f64 v[24:25], v[32:33], v[26:27]
	v_fma_f64 v[26:27], v[30:31], v[38:39], v[8:9]
	v_fma_f64 v[26:27], v[26:27], s[4:5], v[24:25]
	s_waitcnt vmcnt(0)
	v_add_f64 v[2:3], v[2:3], -v[61:62]
	v_fma_f64 v[22:23], v[26:27], v[2:3], v[22:23]
	v_add_u32_e32 v2, 2, v18
	buffer_store_dword v2, off, s[28:31], 0 offset:456 ; 4-byte Folded Spill
	v_add_u32_e32 v2, v19, v2
	v_ashrrev_i32_e32 v3, 31, v2
	v_lshlrev_b64 v[2:3], 3, v[2:3]
	v_mov_b32_e32 v18, s19
	v_add_co_u32_e32 v2, vcc, s18, v2
	v_addc_co_u32_e32 v3, vcc, v18, v3, vcc
	global_load_dwordx2 v[2:3], v[2:3], off
	s_waitcnt vmcnt(0)
	buffer_store_dword v2, off, s[28:31], 0 offset:628 ; 4-byte Folded Spill
	s_nop 0
	buffer_store_dword v3, off, s[28:31], 0 offset:632 ; 4-byte Folded Spill
	global_load_dwordx2 v[4:5], v[4:5], off offset:16
	s_waitcnt vmcnt(0)
	buffer_store_dword v4, off, s[28:31], 0 offset:288 ; 4-byte Folded Spill
	s_nop 0
	buffer_store_dword v5, off, s[28:31], 0 offset:292 ; 4-byte Folded Spill
	global_load_dwordx2 v[18:19], v[6:7], off offset:16
	s_waitcnt vmcnt(0)
	buffer_store_dword v18, off, s[28:31], 0 offset:620 ; 4-byte Folded Spill
	s_nop 0
	buffer_store_dword v19, off, s[28:31], 0 offset:624 ; 4-byte Folded Spill
	v_mul_f64 v[2:3], v[2:3], v[4:5]
	v_mul_f64 v[26:27], v[4:5], v[2:3]
	buffer_store_dword v26, off, s[28:31], 0 offset:588 ; 4-byte Folded Spill
	s_nop 0
	buffer_store_dword v27, off, s[28:31], 0 offset:592 ; 4-byte Folded Spill
	v_fma_f64 v[4:5], v[56:57], v[40:41], v[8:9]
	v_fma_f64 v[2:3], v[18:19], v[26:27], v[24:25]
	;; [unrolled: 1-line block ×3, first 2 shown]
	global_load_dwordx4 v[2:5], v[12:13], off offset:8
	v_mov_b32_e32 v12, s21
	s_waitcnt vmcnt(0)
	v_add_f64 v[2:3], v[2:3], -v[61:62]
	v_add_f64 v[4:5], v[4:5], -v[61:62]
	v_fma_f64 v[2:3], v[6:7], v[2:3], v[22:23]
	v_fma_f64 v[6:7], v[18:19], v[26:27], v[8:9]
	v_mov_b32_e32 v8, s23
	v_mov_b32_e32 v18, s21
	;; [unrolled: 1-line block ×4, first 2 shown]
	v_fma_f64 v[6:7], v[6:7], s[4:5], v[10:11]
	v_mov_b32_e32 v11, s19
	v_fma_f64 v[2:3], v[6:7], v[4:5], v[2:3]
	buffer_store_dword v2, off, s[28:31], 0 offset:400 ; 4-byte Folded Spill
	s_nop 0
	buffer_store_dword v3, off, s[28:31], 0 offset:404 ; 4-byte Folded Spill
	v_add_u32_e32 v2, -2, v17
	v_mul_lo_u32 v9, v2, s7
	v_mov_b32_e32 v5, s19
	v_mov_b32_e32 v6, s21
	;; [unrolled: 1-line block ×3, first 2 shown]
	v_add3_u32 v2, v42, v9, v15
	v_ashrrev_i32_e32 v3, 31, v2
	v_lshlrev_b64 v[2:3], 3, v[2:3]
	v_add_u32_e32 v13, s7, v9
	v_add_co_u32_e32 v4, vcc, s18, v2
	v_addc_co_u32_e32 v5, vcc, v5, v3, vcc
	v_add_co_u32_e32 v2, vcc, s20, v2
	v_addc_co_u32_e32 v3, vcc, v6, v3, vcc
	v_add_u32_e32 v6, v9, v16
	v_add_u32_e32 v7, v6, v42
	buffer_store_dword v6, off, s[28:31], 0 offset:368 ; 4-byte Folded Spill
	v_add_u32_e32 v6, s6, v7
	v_mov_b32_e32 v40, v7
	v_ashrrev_i32_e32 v7, 31, v6
	v_lshlrev_b64 v[6:7], 3, v[6:7]
	buffer_store_dword v9, off, s[28:31], 0 offset:604 ; 4-byte Folded Spill
	v_add_co_u32_e32 v6, vcc, s22, v6
	v_addc_co_u32_e32 v7, vcc, v8, v7, vcc
	v_add3_u32 v8, v42, v13, v15
	v_ashrrev_i32_e32 v9, 31, v8
	v_lshlrev_b64 v[8:9], 3, v[8:9]
	v_mov_b32_e32 v19, v13
	v_add_co_u32_e32 v10, vcc, s18, v8
	v_addc_co_u32_e32 v11, vcc, v11, v9, vcc
	v_add_co_u32_e32 v8, vcc, s20, v8
	v_addc_co_u32_e32 v9, vcc, v12, v9, vcc
	v_add_u32_e32 v12, v13, v16
	v_add_u32_e32 v13, v12, v42
	buffer_store_dword v40, off, s[28:31], 0 offset:320 ; 4-byte Folded Spill
	buffer_store_dword v19, off, s[28:31], 0 offset:596 ; 4-byte Folded Spill
	;; [unrolled: 1-line block ×3, first 2 shown]
	v_add_u32_e32 v12, s6, v13
	v_mov_b32_e32 v27, v13
	v_ashrrev_i32_e32 v13, 31, v12
	v_lshlrev_b64 v[12:13], 3, v[12:13]
	v_lshl_add_u32 v24, s7, 1, v19
	v_add_co_u32_e32 v12, vcc, s22, v12
	v_addc_co_u32_e32 v13, vcc, v17, v13, vcc
	v_add3_u32 v19, v42, v24, v15
	v_add_co_u32_e32 v17, vcc, s20, v20
	v_ashrrev_i32_e32 v20, 31, v19
	v_lshlrev_b64 v[19:20], 3, v[19:20]
	v_addc_co_u32_e32 v18, vcc, v18, v21, vcc
	v_add_co_u32_e32 v21, vcc, s18, v19
	v_addc_co_u32_e32 v22, vcc, v22, v20, vcc
	v_add_co_u32_e32 v19, vcc, s20, v19
	v_addc_co_u32_e32 v20, vcc, v23, v20, vcc
	v_add_u32_e32 v23, v24, v16
	v_mov_b32_e32 v41, v24
	buffer_store_dword v27, off, s[28:31], 0 offset:284 ; 4-byte Folded Spill
	buffer_store_dword v41, off, s[28:31], 0 offset:612 ; 4-byte Folded Spill
	;; [unrolled: 1-line block ×3, first 2 shown]
	v_add_u32_e32 v23, v23, v42
	buffer_store_dword v23, off, s[28:31], 0 offset:200 ; 4-byte Folded Spill
	global_load_dwordx2 v[4:5], v[4:5], off
	s_nop 0
	global_load_dwordx2 v[32:33], v[2:3], off
	s_waitcnt vmcnt(0)
	buffer_store_dword v32, off, s[28:31], 0 offset:16 ; 4-byte Folded Spill
	s_nop 0
	buffer_store_dword v33, off, s[28:31], 0 offset:20 ; 4-byte Folded Spill
	global_load_dwordx2 v[38:39], v[6:7], off
	global_load_dwordx2 v[2:3], v[10:11], off
	s_nop 0
	global_load_dwordx2 v[8:9], v[8:9], off
	v_add_u32_e32 v24, s6, v23
	v_ashrrev_i32_e32 v25, 31, v24
	v_lshlrev_b64 v[25:26], 3, v[24:25]
	v_mov_b32_e32 v23, s23
	v_add_co_u32_e32 v25, vcc, s22, v25
	s_waitcnt vmcnt(0)
	buffer_store_dword v8, off, s[28:31], 0 ; 4-byte Folded Spill
	s_nop 0
	buffer_store_dword v9, off, s[28:31], 0 offset:4 ; 4-byte Folded Spill
	v_addc_co_u32_e32 v26, vcc, v23, v26, vcc
	global_load_dwordx2 v[6:7], v[21:22], off
	s_nop 0
	global_load_dwordx2 v[22:23], v[19:20], off
	v_fma_f64 v[4:5], v[4:5], 2.0, v[32:33]
	s_waitcnt vmcnt(0)
	buffer_store_dword v22, off, s[28:31], 0 offset:8 ; 4-byte Folded Spill
	s_nop 0
	buffer_store_dword v23, off, s[28:31], 0 offset:12 ; 4-byte Folded Spill
	global_load_dwordx2 v[30:31], v[17:18], off
	s_nop 0
	global_load_dwordx2 v[17:18], v[25:26], off
	global_load_dwordx2 v[10:11], v[12:13], off
	s_nop 0
	buffer_store_dword v4, off, s[28:31], 0 offset:212 ; 4-byte Folded Spill
	s_nop 0
	buffer_store_dword v5, off, s[28:31], 0 offset:216 ; 4-byte Folded Spill
	buffer_store_dword v38, off, s[28:31], 0 offset:48 ; 4-byte Folded Spill
	s_nop 0
	buffer_store_dword v39, off, s[28:31], 0 offset:52 ; 4-byte Folded Spill
	v_fma_f64 v[8:9], v[2:3], 2.0, v[8:9]
	buffer_store_dword v8, off, s[28:31], 0 offset:192 ; 4-byte Folded Spill
	s_nop 0
	buffer_store_dword v9, off, s[28:31], 0 offset:196 ; 4-byte Folded Spill
	v_mov_b32_e32 v13, s23
	s_waitcnt vmcnt(8)
	v_fma_f64 v[2:3], v[52:53], 2.0, v[30:31]
	v_mul_f64 v[4:5], v[4:5], v[38:39]
	v_mul_f64 v[20:21], v[38:39], v[4:5]
	v_fma_f64 v[4:5], v[6:7], 2.0, v[22:23]
	buffer_store_dword v4, off, s[28:31], 0 offset:204 ; 4-byte Folded Spill
	s_nop 0
	buffer_store_dword v5, off, s[28:31], 0 offset:208 ; 4-byte Folded Spill
	buffer_store_dword v52, off, s[28:31], 0 offset:416 ; 4-byte Folded Spill
	s_nop 0
	buffer_store_dword v53, off, s[28:31], 0 offset:420 ; 4-byte Folded Spill
	;; [unrolled: 3-line block ×4, first 2 shown]
	buffer_store_dword v36, off, s[28:31], 0 offset:440 ; 4-byte Folded Spill
	buffer_store_dword v37, off, s[28:31], 0 offset:444 ; 4-byte Folded Spill
	s_waitcnt vmcnt(17)
	buffer_store_dword v17, off, s[28:31], 0 offset:72 ; 4-byte Folded Spill
	s_nop 0
	buffer_store_dword v18, off, s[28:31], 0 offset:76 ; 4-byte Folded Spill
	s_waitcnt vmcnt(18)
	buffer_store_dword v10, off, s[28:31], 0 offset:56 ; 4-byte Folded Spill
	s_nop 0
	buffer_store_dword v11, off, s[28:31], 0 offset:60 ; 4-byte Folded Spill
	v_mul_f64 v[2:3], v[34:35], v[2:3]
	v_mul_f64 v[4:5], v[4:5], v[17:18]
	;; [unrolled: 1-line block ×7, first 2 shown]
	buffer_store_dword v48, off, s[28:31], 0 offset:104 ; 4-byte Folded Spill
	s_nop 0
	buffer_store_dword v49, off, s[28:31], 0 offset:108 ; 4-byte Folded Spill
	buffer_store_dword v50, off, s[28:31], 0 offset:112 ; 4-byte Folded Spill
	;; [unrolled: 1-line block ×3, first 2 shown]
	global_load_dwordx4 v[6:9], v[28:29], off offset:-16
	v_mul_f64 v[38:39], v[10:11], v[4:5]
	s_waitcnt vmcnt(0)
	v_fma_f64 v[2:3], v[6:7], v[20:21], v[34:35]
	v_fma_f64 v[4:5], v[8:9], v[38:39], v[32:33]
	;; [unrolled: 1-line block ×3, first 2 shown]
	v_add_u32_e32 v4, s10, v27
	v_ashrrev_i32_e32 v5, 31, v4
	v_lshlrev_b64 v[10:11], 3, v[4:5]
	buffer_store_dword v10, off, s[28:31], 0 offset:276 ; 4-byte Folded Spill
	s_nop 0
	buffer_store_dword v11, off, s[28:31], 0 offset:280 ; 4-byte Folded Spill
	v_mov_b32_e32 v5, s17
	v_add_co_u32_e32 v4, vcc, s16, v10
	v_addc_co_u32_e32 v5, vcc, v5, v11, vcc
	global_load_dwordx2 v[4:5], v[4:5], off
	s_waitcnt vmcnt(0)
	v_add_f64 v[4:5], v[4:5], -v[61:62]
	v_mul_f64 v[2:3], v[2:3], v[4:5]
	v_add_u32_e32 v4, s10, v40
	v_ashrrev_i32_e32 v5, 31, v4
	v_lshlrev_b64 v[10:11], 3, v[4:5]
	buffer_store_dword v10, off, s[28:31], 0 offset:324 ; 4-byte Folded Spill
	s_nop 0
	buffer_store_dword v11, off, s[28:31], 0 offset:328 ; 4-byte Folded Spill
	v_mov_b32_e32 v5, s17
	v_add_co_u32_e32 v4, vcc, s16, v10
	v_addc_co_u32_e32 v5, vcc, v5, v11, vcc
	v_mov_b32_e32 v11, v9
	v_mov_b32_e32 v10, v8
	;; [unrolled: 1-line block ×4, first 2 shown]
	global_load_dwordx2 v[4:5], v[4:5], off
	s_nop 0
	buffer_store_dword v8, off, s[28:31], 0 offset:304 ; 4-byte Folded Spill
	s_nop 0
	buffer_store_dword v9, off, s[28:31], 0 offset:308 ; 4-byte Folded Spill
	buffer_store_dword v10, off, s[28:31], 0 offset:312 ; 4-byte Folded Spill
	;; [unrolled: 1-line block ×3, first 2 shown]
	v_mul_f64 v[6:7], v[10:11], v[38:39]
	v_fma_f64 v[8:9], v[8:9], v[20:21], v[32:33]
	s_waitcnt vmcnt(4)
	v_add_f64 v[4:5], v[4:5], -v[61:62]
	v_add_u32_e32 v11, s7, v41
	v_mov_b32_e32 v10, s21
	buffer_store_dword v11, off, s[28:31], 0 offset:636 ; 4-byte Folded Spill
	buffer_store_dword v42, off, s[28:31], 0 offset:644 ; 4-byte Folded Spill
	s_mul_i32 s7, s6, 3
	v_fma_f64 v[8:9], v[8:9], s[4:5], v[6:7]
	v_fma_f64 v[2:3], v[8:9], v[4:5], v[2:3]
	v_add3_u32 v4, v42, v11, v15
	v_ashrrev_i32_e32 v5, 31, v4
	v_lshlrev_b64 v[4:5], 3, v[4:5]
	v_mov_b32_e32 v9, s19
	v_add_co_u32_e32 v8, vcc, s18, v4
	v_addc_co_u32_e32 v9, vcc, v9, v5, vcc
	v_add_co_u32_e32 v4, vcc, s20, v4
	v_addc_co_u32_e32 v5, vcc, v10, v5, vcc
	v_add_u32_e32 v10, v11, v16
	buffer_store_dword v10, off, s[28:31], 0 offset:500 ; 4-byte Folded Spill
	v_add_u32_e32 v10, v10, v42
	buffer_store_dword v10, off, s[28:31], 0 offset:348 ; 4-byte Folded Spill
	global_load_dwordx2 v[8:9], v[8:9], off
	s_nop 0
	global_load_dwordx2 v[4:5], v[4:5], off
	v_add_u32_e32 v10, s6, v10
	s_waitcnt vmcnt(0)
	buffer_store_dword v4, off, s[28:31], 0 offset:24 ; 4-byte Folded Spill
	s_nop 0
	buffer_store_dword v5, off, s[28:31], 0 offset:28 ; 4-byte Folded Spill
	v_ashrrev_i32_e32 v11, 31, v10
	v_lshlrev_b64 v[11:12], 3, v[10:11]
	v_add_co_u32_e32 v11, vcc, s22, v11
	v_addc_co_u32_e32 v12, vcc, v13, v12, vcc
	global_load_dwordx2 v[15:16], v[11:12], off
	s_waitcnt vmcnt(0)
	buffer_store_dword v15, off, s[28:31], 0 offset:64 ; 4-byte Folded Spill
	s_nop 0
	buffer_store_dword v16, off, s[28:31], 0 offset:68 ; 4-byte Folded Spill
	v_fma_f64 v[4:5], v[8:9], 2.0, v[4:5]
	global_load_dwordx2 v[11:12], v[28:29], off offset:16
	s_nop 0
	buffer_store_dword v4, off, s[28:31], 0 offset:340 ; 4-byte Folded Spill
	s_nop 0
	buffer_store_dword v5, off, s[28:31], 0 offset:344 ; 4-byte Folded Spill
	v_fma_f64 v[8:9], v[50:51], v[36:37], v[32:33]
	v_mul_f64 v[4:5], v[4:5], v[15:16]
	v_mul_f64 v[4:5], v[15:16], v[4:5]
	s_waitcnt vmcnt(2)
	v_mov_b32_e32 v16, v12
	v_mov_b32_e32 v15, v11
	buffer_store_dword v15, off, s[28:31], 0 offset:352 ; 4-byte Folded Spill
	s_nop 0
	buffer_store_dword v16, off, s[28:31], 0 offset:356 ; 4-byte Folded Spill
	v_fma_f64 v[6:7], v[11:12], v[4:5], v[6:7]
	v_fma_f64 v[6:7], v[8:9], s[2:3], v[6:7]
	v_add_u32_e32 v8, s6, v24
	v_ashrrev_i32_e32 v9, 31, v8
	v_lshlrev_b64 v[11:12], 3, v[8:9]
	buffer_store_dword v11, off, s[28:31], 0 offset:332 ; 4-byte Folded Spill
	s_nop 0
	buffer_store_dword v12, off, s[28:31], 0 offset:336 ; 4-byte Folded Spill
	v_mov_b32_e32 v9, s17
	v_fma_f64 v[4:5], v[15:16], v[4:5], v[32:33]
	v_fma_f64 v[4:5], v[4:5], s[4:5], v[34:35]
	v_add_co_u32_e32 v8, vcc, s16, v11
	v_addc_co_u32_e32 v9, vcc, v9, v12, vcc
	global_load_dwordx2 v[8:9], v[8:9], off
	s_nop 0
	buffer_store_dword v59, off, s[28:31], 0 offset:564 ; 4-byte Folded Spill
	s_nop 0
	buffer_store_dword v60, off, s[28:31], 0 offset:568 ; 4-byte Folded Spill
	buffer_store_dword v61, off, s[28:31], 0 offset:572 ; 4-byte Folded Spill
	;; [unrolled: 1-line block ×3, first 2 shown]
	s_waitcnt vmcnt(4)
	v_add_f64 v[8:9], v[8:9], -v[61:62]
	v_fma_f64 v[2:3], v[6:7], v[8:9], v[2:3]
	v_add_u32_e32 v6, s6, v10
	v_ashrrev_i32_e32 v7, 31, v6
	v_lshlrev_b64 v[8:9], 3, v[6:7]
	buffer_store_dword v8, off, s[28:31], 0 offset:388 ; 4-byte Folded Spill
	s_nop 0
	buffer_store_dword v9, off, s[28:31], 0 offset:392 ; 4-byte Folded Spill
	v_mov_b32_e32 v7, s17
	v_add_co_u32_e32 v6, vcc, s16, v8
	v_addc_co_u32_e32 v7, vcc, v7, v9, vcc
	global_load_dwordx2 v[6:7], v[6:7], off
	s_waitcnt vmcnt(0)
	v_add_f64 v[6:7], v[6:7], -v[61:62]
	v_fma_f64 v[2:3], v[4:5], v[6:7], v[2:3]
	buffer_store_dword v2, off, s[28:31], 0 offset:652 ; 4-byte Folded Spill
	s_nop 0
	buffer_store_dword v3, off, s[28:31], 0 offset:656 ; 4-byte Folded Spill
	v_add_u32_e32 v2, -2, v14
	v_mul_lo_u32 v3, v2, s9
	v_mov_b32_e32 v4, s19
	v_mov_b32_e32 v5, s21
	v_add_u32_e32 v2, v3, v46
	v_mov_b32_e32 v6, v3
	v_ashrrev_i32_e32 v3, 31, v2
	v_lshlrev_b64 v[2:3], 3, v[2:3]
	v_mov_b32_e32 v10, v6
	v_add_co_u32_e32 v12, vcc, s18, v2
	v_addc_co_u32_e32 v13, vcc, v4, v3, vcc
	v_add_co_u32_e32 v4, vcc, s20, v2
	v_addc_co_u32_e32 v5, vcc, v5, v3, vcc
	v_add_u32_e32 v3, s9, v6
	v_add_u32_e32 v2, v3, v46
	v_mov_b32_e32 v7, v3
	v_ashrrev_i32_e32 v3, 31, v2
	v_lshlrev_b64 v[2:3], 3, v[2:3]
	v_mov_b32_e32 v6, s19
	v_add_co_u32_e32 v8, vcc, s18, v2
	v_addc_co_u32_e32 v9, vcc, v6, v3, vcc
	v_mov_b32_e32 v6, s21
	v_add_co_u32_e32 v14, vcc, s20, v2
	v_addc_co_u32_e32 v15, vcc, v6, v3, vcc
	v_lshl_add_u32 v3, s9, 1, v7
	v_add_u32_e32 v2, v3, v46
	v_mov_b32_e32 v18, v3
	v_ashrrev_i32_e32 v3, 31, v2
	v_lshlrev_b64 v[2:3], 3, v[2:3]
	v_mov_b32_e32 v6, s19
	v_add_co_u32_e32 v20, vcc, s18, v2
	v_addc_co_u32_e32 v21, vcc, v6, v3, vcc
	v_mov_b32_e32 v6, s21
	v_add_co_u32_e32 v22, vcc, s20, v2
	v_addc_co_u32_e32 v23, vcc, v6, v3, vcc
	v_mov_b32_e32 v2, s17
	v_add_co_u32_e32 v0, vcc, s16, v0
	v_add_u32_e32 v61, v10, v47
	v_addc_co_u32_e32 v1, vcc, v2, v1, vcc
	v_add_u32_e32 v2, s10, v61
	v_ashrrev_i32_e32 v3, 31, v2
	v_lshlrev_b64 v[40:41], 3, v[2:3]
	v_add_u32_e32 v2, s6, v2
	v_ashrrev_i32_e32 v3, 31, v2
	buffer_store_dword v10, off, s[28:31], 0 offset:516 ; 4-byte Folded Spill
	v_lshlrev_b64 v[10:11], 3, v[2:3]
	buffer_store_dword v7, off, s[28:31], 0 offset:488 ; 4-byte Folded Spill
	buffer_store_dword v10, off, s[28:31], 0 offset:916 ; 4-byte Folded Spill
	s_nop 0
	buffer_store_dword v11, off, s[28:31], 0 offset:920 ; 4-byte Folded Spill
	v_mov_b32_e32 v6, s23
	v_add_co_u32_e32 v16, vcc, s22, v40
	v_addc_co_u32_e32 v17, vcc, v6, v41, vcc
	v_mov_b32_e32 v2, s23
	v_add_u32_e32 v59, v7, v47
	v_add_co_u32_e32 v24, vcc, s22, v10
	v_addc_co_u32_e32 v25, vcc, v2, v11, vcc
	v_add_u32_e32 v2, s10, v59
	v_ashrrev_i32_e32 v3, 31, v2
	v_lshlrev_b64 v[56:57], 3, v[2:3]
	v_add_u32_e32 v2, s6, v2
	v_add_co_u32_e32 v26, vcc, s22, v56
	v_ashrrev_i32_e32 v3, 31, v2
	v_addc_co_u32_e32 v27, vcc, v6, v57, vcc
	v_lshlrev_b64 v[6:7], 3, v[2:3]
	buffer_store_dword v6, off, s[28:31], 0 offset:932 ; 4-byte Folded Spill
	s_nop 0
	buffer_store_dword v7, off, s[28:31], 0 offset:936 ; 4-byte Folded Spill
	buffer_store_dword v44, off, s[28:31], 0 offset:296 ; 4-byte Folded Spill
	s_nop 0
	buffer_store_dword v45, off, s[28:31], 0 offset:300 ; 4-byte Folded Spill
	v_mov_b32_e32 v2, s23
	v_add_u32_e32 v59, s6, v59
	v_ashrrev_i32_e32 v60, 31, v59
	v_add_co_u32_e32 v28, vcc, s22, v6
	v_addc_co_u32_e32 v29, vcc, v2, v7, vcc
	v_add_co_u32_e32 v6, vcc, s22, v44
	v_addc_co_u32_e32 v7, vcc, v2, v45, vcc
	v_add_u32_e32 v2, s7, v58
	v_mov_b32_e32 v51, v7
	v_ashrrev_i32_e32 v3, 31, v2
	v_mov_b32_e32 v50, v6
	v_lshlrev_b64 v[6:7], 3, v[2:3]
	buffer_store_dword v50, off, s[28:31], 0 offset:660 ; 4-byte Folded Spill
	s_nop 0
	buffer_store_dword v51, off, s[28:31], 0 offset:664 ; 4-byte Folded Spill
	buffer_store_dword v6, off, s[28:31], 0 offset:956 ; 4-byte Folded Spill
	s_nop 0
	buffer_store_dword v7, off, s[28:31], 0 offset:960 ; 4-byte Folded Spill
	v_mov_b32_e32 v2, s23
	v_mov_b32_e32 v44, v18
	;; [unrolled: 1-line block ×3, first 2 shown]
	v_add_co_u32_e32 v6, vcc, s22, v6
	v_addc_co_u32_e32 v7, vcc, v2, v7, vcc
	v_mov_b32_e32 v49, v7
	v_add_u32_e32 v2, v44, v47
	v_mov_b32_e32 v48, v6
	v_add_u32_e32 v6, s10, v2
	v_ashrrev_i32_e32 v7, 31, v6
	v_lshlrev_b64 v[54:55], 3, v[6:7]
	v_add_u32_e32 v6, s6, v6
	v_ashrrev_i32_e32 v7, 31, v6
	v_lshlrev_b64 v[6:7], 3, v[6:7]
	buffer_store_dword v48, off, s[28:31], 0 offset:668 ; 4-byte Folded Spill
	s_nop 0
	buffer_store_dword v49, off, s[28:31], 0 offset:672 ; 4-byte Folded Spill
	buffer_store_dword v44, off, s[28:31], 0 offset:512 ; 4-byte Folded Spill
	;; [unrolled: 1-line block ×3, first 2 shown]
	s_nop 0
	buffer_store_dword v7, off, s[28:31], 0 offset:952 ; 4-byte Folded Spill
	global_load_dwordx2 v[18:19], v[12:13], off
	global_load_dwordx2 v[38:39], v[4:5], off
	;; [unrolled: 1-line block ×3, first 2 shown]
	s_nop 0
	global_load_dwordx2 v[16:17], v[24:25], off
	global_load_dwordx2 v[42:43], v[8:9], off
	v_add_co_u32_e32 v34, vcc, s22, v54
	v_addc_co_u32_e32 v35, vcc, v3, v55, vcc
	s_waitcnt vmcnt(0)
	buffer_store_dword v42, off, s[28:31], 0 offset:32 ; 4-byte Folded Spill
	s_nop 0
	buffer_store_dword v43, off, s[28:31], 0 offset:36 ; 4-byte Folded Spill
	v_add_co_u32_e32 v36, vcc, s22, v6
	v_addc_co_u32_e32 v37, vcc, v3, v7, vcc
	global_load_dwordx2 v[6:7], v[14:15], off
	global_load_dwordx2 v[62:63], v[26:27], off
	v_add_f64 v[3:4], v[52:53], v[30:31]
	s_waitcnt vmcnt(0)
	buffer_store_dword v62, off, s[28:31], 0 offset:136 ; 4-byte Folded Spill
	s_nop 0
	buffer_store_dword v63, off, s[28:31], 0 offset:140 ; 4-byte Folded Spill
	global_load_dwordx2 v[26:27], v[28:29], off
	s_nop 0
	buffer_store_dword v3, off, s[28:31], 0 offset:980 ; 4-byte Folded Spill
	s_nop 0
	buffer_store_dword v4, off, s[28:31], 0 offset:984 ; 4-byte Folded Spill
	global_load_dwordx2 v[14:15], v[20:21], off
	s_waitcnt vmcnt(0)
	buffer_store_dword v14, off, s[28:31], 0 offset:40 ; 4-byte Folded Spill
	s_nop 0
	buffer_store_dword v15, off, s[28:31], 0 offset:44 ; 4-byte Folded Spill
	global_load_dwordx2 v[8:9], v[22:23], off
	s_waitcnt vmcnt(0)
	buffer_store_dword v8, off, s[28:31], 0 offset:96 ; 4-byte Folded Spill
	s_nop 0
	buffer_store_dword v9, off, s[28:31], 0 offset:100 ; 4-byte Folded Spill
	global_load_dwordx2 v[20:21], v[34:35], off
	s_waitcnt vmcnt(0)
	buffer_store_dword v20, off, s[28:31], 0 offset:144 ; 4-byte Folded Spill
	s_nop 0
	buffer_store_dword v21, off, s[28:31], 0 offset:148 ; 4-byte Folded Spill
	global_load_dwordx2 v[32:33], v[36:37], off
	s_nop 0
	global_load_dwordx4 v[50:53], v[50:51], off
	v_add_f64 v[14:15], v[14:15], v[8:9]
	global_load_dwordx4 v[22:25], v[48:49], off
	s_waitcnt vmcnt(0)
	buffer_store_dword v22, off, s[28:31], 0 offset:152 ; 4-byte Folded Spill
	s_nop 0
	buffer_store_dword v23, off, s[28:31], 0 offset:156 ; 4-byte Folded Spill
	buffer_store_dword v24, off, s[28:31], 0 offset:160 ; 4-byte Folded Spill
	;; [unrolled: 1-line block ×4, first 2 shown]
	s_nop 0
	buffer_store_dword v15, off, s[28:31], 0 offset:992 ; 4-byte Folded Spill
	v_add_f64 v[8:9], v[18:19], v[38:39]
	buffer_store_dword v8, off, s[28:31], 0 offset:996 ; 4-byte Folded Spill
	s_nop 0
	buffer_store_dword v9, off, s[28:31], 0 offset:1000 ; 4-byte Folded Spill
	buffer_store_dword v38, off, s[28:31], 0 offset:860 ; 4-byte Folded Spill
	s_nop 0
	buffer_store_dword v39, off, s[28:31], 0 offset:864 ; 4-byte Folded Spill
	v_mul_f64 v[4:5], v[3:4], v[50:51]
	v_mov_b32_e32 v3, s17
	v_mul_f64 v[4:5], v[4:5], v[22:23]
	v_mul_f64 v[12:13], v[14:15], v[20:21]
	v_add_f64 v[14:15], v[42:43], v[6:7]
	v_mov_b32_e32 v43, v7
	v_mov_b32_e32 v42, v6
	v_lshlrev_b64 v[6:7], 3, v[59:60]
	buffer_store_dword v14, off, s[28:31], 0 offset:1004 ; 4-byte Folded Spill
	s_nop 0
	buffer_store_dword v15, off, s[28:31], 0 offset:1008 ; 4-byte Folded Spill
	buffer_store_dword v42, off, s[28:31], 0 offset:788 ; 4-byte Folded Spill
	s_nop 0
	buffer_store_dword v43, off, s[28:31], 0 offset:792 ; 4-byte Folded Spill
	;; [unrolled: 3-line block ×3, first 2 shown]
	v_mul_f64 v[30:31], v[8:9], v[10:11]
	v_mul_f64 v[22:23], v[12:13], v[32:33]
	v_fma_f64 v[12:13], v[12:13], v[32:33], v[4:5]
	v_fma_f64 v[24:25], v[30:31], v[16:17], v[22:23]
	v_mul_f64 v[20:21], v[14:15], v[62:63]
	v_add_u32_e32 v14, s6, v61
	v_add_co_u32_e32 v6, vcc, s16, v6
	v_addc_co_u32_e32 v7, vcc, v3, v7, vcc
	buffer_store_dword v6, off, s[28:31], 0 offset:676 ; 4-byte Folded Spill
	s_nop 0
	buffer_store_dword v7, off, s[28:31], 0 offset:680 ; 4-byte Folded Spill
	global_load_dwordx2 v[62:63], v[0:1], off
	s_nop 0
	global_load_dwordx4 v[6:9], v[6:7], off
	s_waitcnt vmcnt(0)
	buffer_store_dword v6, off, s[28:31], 0 offset:684 ; 4-byte Folded Spill
	s_nop 0
	buffer_store_dword v7, off, s[28:31], 0 offset:688 ; 4-byte Folded Spill
	buffer_store_dword v8, off, s[28:31], 0 offset:692 ; 4-byte Folded Spill
	;; [unrolled: 1-line block ×3, first 2 shown]
	v_ashrrev_i32_e32 v15, 31, v14
	v_fma_f64 v[28:29], v[20:21], v[26:27], v[4:5]
	v_mul_f64 v[20:21], v[20:21], v[26:27]
	v_fma_f64 v[24:25], v[28:29], s[2:3], v[24:25]
	v_fma_f64 v[28:29], v[30:31], v[16:17], v[4:5]
	;; [unrolled: 1-line block ×3, first 2 shown]
	v_add_f64 v[0:1], v[6:7], -v[62:63]
	v_lshlrev_b64 v[6:7], 3, v[14:15]
	buffer_store_dword v6, off, s[28:31], 0 offset:716 ; 4-byte Folded Spill
	s_nop 0
	buffer_store_dword v7, off, s[28:31], 0 offset:720 ; 4-byte Folded Spill
	v_mul_f64 v[0:1], v[24:25], v[0:1]
	v_add_co_u32_e32 v6, vcc, s16, v6
	v_addc_co_u32_e32 v7, vcc, v3, v7, vcc
	buffer_store_dword v6, off, s[28:31], 0 offset:708 ; 4-byte Folded Spill
	s_nop 0
	buffer_store_dword v7, off, s[28:31], 0 offset:712 ; 4-byte Folded Spill
	v_mov_b32_e32 v3, s19
	global_load_dwordx4 v[6:9], v[6:7], off
	s_waitcnt vmcnt(0)
	buffer_store_dword v6, off, s[28:31], 0 offset:724 ; 4-byte Folded Spill
	s_nop 0
	buffer_store_dword v7, off, s[28:31], 0 offset:728 ; 4-byte Folded Spill
	buffer_store_dword v8, off, s[28:31], 0 offset:732 ; 4-byte Folded Spill
	;; [unrolled: 1-line block ×3, first 2 shown]
	v_add_f64 v[30:31], v[6:7], -v[62:63]
	v_add_u32_e32 v6, s9, v44
	buffer_store_dword v6, off, s[28:31], 0 offset:548 ; 4-byte Folded Spill
	v_fma_f64 v[48:49], v[28:29], v[30:31], v[0:1]
	v_add_u32_e32 v0, v6, v46
	v_ashrrev_i32_e32 v1, 31, v0
	v_lshlrev_b64 v[0:1], 3, v[0:1]
	v_add_co_u32_e32 v28, vcc, s18, v0
	v_addc_co_u32_e32 v29, vcc, v3, v1, vcc
	v_mov_b32_e32 v3, s21
	v_add_co_u32_e32 v30, vcc, s20, v0
	v_addc_co_u32_e32 v31, vcc, v3, v1, vcc
	v_add_u32_e32 v3, v6, v47
	v_add_u32_e32 v0, s10, v3
	v_ashrrev_i32_e32 v1, 31, v0
	v_lshlrev_b64 v[60:61], 3, v[0:1]
	v_add_u32_e32 v0, s6, v0
	v_mov_b32_e32 v6, s23
	v_add_co_u32_e32 v36, vcc, s22, v60
	v_ashrrev_i32_e32 v1, 31, v0
	v_addc_co_u32_e32 v37, vcc, v6, v61, vcc
	v_lshlrev_b64 v[6:7], 3, v[0:1]
	buffer_store_dword v6, off, s[28:31], 0 offset:1012 ; 4-byte Folded Spill
	s_nop 0
	buffer_store_dword v7, off, s[28:31], 0 offset:1016 ; 4-byte Folded Spill
	v_mov_b32_e32 v0, s23
	v_add_co_u32_e32 v46, vcc, s22, v6
	v_addc_co_u32_e32 v47, vcc, v0, v7, vcc
	global_load_dwordx2 v[6:7], v[28:29], off
	s_waitcnt vmcnt(0)
	buffer_store_dword v6, off, s[28:31], 0 offset:88 ; 4-byte Folded Spill
	s_nop 0
	buffer_store_dword v7, off, s[28:31], 0 offset:92 ; 4-byte Folded Spill
	global_load_dwordx2 v[0:1], v[30:31], off
	s_waitcnt vmcnt(0)
	buffer_store_dword v0, off, s[28:31], 0 offset:1036 ; 4-byte Folded Spill
	s_nop 0
	buffer_store_dword v1, off, s[28:31], 0 offset:1040 ; 4-byte Folded Spill
	global_load_dwordx2 v[28:29], v[36:37], off
	global_load_dwordx2 v[30:31], v[46:47], off
	v_add_f64 v[6:7], v[6:7], v[0:1]
	buffer_store_dword v6, off, s[28:31], 0 offset:1020 ; 4-byte Folded Spill
	s_nop 0
	buffer_store_dword v7, off, s[28:31], 0 offset:1024 ; 4-byte Folded Spill
	v_add_u32_e32 v0, s6, v2
	v_ashrrev_i32_e32 v1, 31, v0
	v_mov_b32_e32 v2, s17
	s_waitcnt vmcnt(3)
	v_mul_f64 v[46:47], v[6:7], v[28:29]
	v_lshlrev_b64 v[6:7], 3, v[0:1]
	buffer_store_dword v6, off, s[28:31], 0 offset:780 ; 4-byte Folded Spill
	s_nop 0
	buffer_store_dword v7, off, s[28:31], 0 offset:784 ; 4-byte Folded Spill
	s_waitcnt vmcnt(4)
	v_fma_f64 v[20:21], v[46:47], v[30:31], v[20:21]
	v_fma_f64 v[4:5], v[46:47], v[30:31], v[4:5]
	;; [unrolled: 1-line block ×4, first 2 shown]
	v_add_co_u32_e32 v1, vcc, s16, v6
	v_addc_co_u32_e32 v2, vcc, v2, v7, vcc
	buffer_store_dword v1, off, s[28:31], 0 offset:772 ; 4-byte Folded Spill
	s_nop 0
	buffer_store_dword v2, off, s[28:31], 0 offset:776 ; 4-byte Folded Spill
	global_load_dwordx4 v[6:9], v[1:2], off
	s_waitcnt vmcnt(0)
	buffer_store_dword v6, off, s[28:31], 0 offset:756 ; 4-byte Folded Spill
	s_nop 0
	buffer_store_dword v7, off, s[28:31], 0 offset:760 ; 4-byte Folded Spill
	buffer_store_dword v8, off, s[28:31], 0 offset:764 ; 4-byte Folded Spill
	;; [unrolled: 1-line block ×3, first 2 shown]
	v_add_u32_e32 v8, s6, v3
	v_ashrrev_i32_e32 v9, 31, v8
	v_lshlrev_b64 v[2:3], 3, v[8:9]
	buffer_store_dword v2, off, s[28:31], 0 offset:852 ; 4-byte Folded Spill
	s_nop 0
	buffer_store_dword v3, off, s[28:31], 0 offset:856 ; 4-byte Folded Spill
	v_mov_b32_e32 v1, s17
	v_mov_b32_e32 v9, s23
	v_add_f64 v[44:45], v[6:7], -v[62:63]
	v_add_co_u32_e32 v2, vcc, s16, v2
	v_addc_co_u32_e32 v3, vcc, v1, v3, vcc
	buffer_store_dword v2, off, s[28:31], 0 offset:844 ; 4-byte Folded Spill
	s_nop 0
	buffer_store_dword v3, off, s[28:31], 0 offset:848 ; 4-byte Folded Spill
	v_fma_f64 v[44:45], v[12:13], v[44:45], v[48:49]
	global_load_dwordx4 v[20:23], v[2:3], off
	s_waitcnt vmcnt(0)
	buffer_store_dword v20, off, s[28:31], 0 offset:828 ; 4-byte Folded Spill
	s_nop 0
	buffer_store_dword v21, off, s[28:31], 0 offset:832 ; 4-byte Folded Spill
	buffer_store_dword v22, off, s[28:31], 0 offset:836 ; 4-byte Folded Spill
	;; [unrolled: 1-line block ×3, first 2 shown]
	v_add_f64 v[2:3], v[20:21], -v[62:63]
	v_fma_f64 v[1:2], v[4:5], v[2:3], v[44:45]
	buffer_store_dword v1, off, s[28:31], 0 offset:1028 ; 4-byte Folded Spill
	s_nop 0
	buffer_store_dword v2, off, s[28:31], 0 offset:1032 ; 4-byte Folded Spill
	v_add_u32_e32 v2, s7, v14
	v_ashrrev_i32_e32 v3, 31, v2
	v_lshlrev_b64 v[2:3], 3, v[2:3]
	v_add_u32_e32 v4, s7, v59
	v_ashrrev_i32_e32 v5, 31, v4
	v_mov_b32_e32 v1, s23
	v_add_co_u32_e32 v2, vcc, s22, v2
	v_lshlrev_b64 v[4:5], 3, v[4:5]
	v_lshl_add_u32 v14, s6, 2, v58
	v_addc_co_u32_e32 v3, vcc, v1, v3, vcc
	v_ashrrev_i32_e32 v15, 31, v14
	v_add_co_u32_e32 v4, vcc, s22, v4
	v_lshlrev_b64 v[14:15], 3, v[14:15]
	v_addc_co_u32_e32 v5, vcc, v1, v5, vcc
	v_add_co_u32_e32 v44, vcc, s22, v14
	v_add_u32_e32 v14, s7, v0
	v_addc_co_u32_e32 v45, vcc, v1, v15, vcc
	v_ashrrev_i32_e32 v15, 31, v14
	v_lshlrev_b64 v[14:15], 3, v[14:15]
	v_mov_b32_e32 v0, s23
	v_add_co_u32_e32 v58, vcc, s22, v14
	v_addc_co_u32_e32 v59, vcc, v0, v15, vcc
	v_mov_b32_e32 v0, s17
	v_add_co_u32_e32 v22, vcc, s16, v40
	v_addc_co_u32_e32 v23, vcc, v0, v41, vcc
	v_add_co_u32_e32 v20, vcc, s16, v56
	v_addc_co_u32_e32 v21, vcc, v0, v57, vcc
	buffer_store_dword v22, off, s[28:31], 0 offset:884 ; 4-byte Folded Spill
	s_nop 0
	buffer_store_dword v23, off, s[28:31], 0 offset:888 ; 4-byte Folded Spill
	buffer_store_dword v20, off, s[28:31], 0 offset:804 ; 4-byte Folded Spill
	s_nop 0
	buffer_store_dword v21, off, s[28:31], 0 offset:808 ; 4-byte Folded Spill
	global_load_dwordx2 v[46:47], v[2:3], off
	buffer_load_dword v34, off, s[28:31], 0 offset:120 ; 4-byte Folded Reload
	buffer_load_dword v35, off, s[28:31], 0 offset:124 ; 4-byte Folded Reload
	buffer_load_dword v36, off, s[28:31], 0 offset:128 ; 4-byte Folded Reload
	buffer_load_dword v37, off, s[28:31], 0 offset:132 ; 4-byte Folded Reload
	s_nop 0
	buffer_store_dword v10, off, s[28:31], 0 offset:796 ; 4-byte Folded Spill
	s_nop 0
	buffer_store_dword v11, off, s[28:31], 0 offset:800 ; 4-byte Folded Spill
	buffer_store_dword v18, off, s[28:31], 0 offset:80 ; 4-byte Folded Spill
	s_nop 0
	buffer_store_dword v19, off, s[28:31], 0 offset:84 ; 4-byte Folded Spill
	buffer_store_dword v16, off, s[28:31], 0 offset:1044 ; 4-byte Folded Spill
	s_nop 0
	buffer_store_dword v17, off, s[28:31], 0 offset:1048 ; 4-byte Folded Spill
	v_mov_b32_e32 v41, v27
	v_mov_b32_e32 v40, v26
	s_waitcnt vmcnt(10)
	v_mul_f64 v[56:57], v[46:47], v[46:47]
	s_waitcnt vmcnt(8)
	v_mul_f64 v[2:3], v[34:35], v[10:11]
	v_mul_f64 v[2:3], v[10:11], v[2:3]
	v_fma_f64 v[2:3], v[34:35], v[2:3], v[56:57]
	v_fma_f64 v[56:57], v[18:19], 2.0, v[38:39]
	v_mul_f64 v[2:3], v[18:19], v[2:3]
	v_mul_f64 v[0:1], v[56:57], v[16:17]
	buffer_store_dword v0, off, s[28:31], 0 offset:524 ; 4-byte Folded Spill
	s_nop 0
	buffer_store_dword v1, off, s[28:31], 0 offset:528 ; 4-byte Folded Spill
	buffer_load_dword v12, off, s[28:31], 0 offset:104 ; 4-byte Folded Reload
	buffer_load_dword v13, off, s[28:31], 0 offset:108 ; 4-byte Folded Reload
	;; [unrolled: 1-line block ×4, first 2 shown]
	global_load_dwordx2 v[48:49], v[4:5], off
	s_waitcnt vmcnt(3)
	v_mul_f64 v[56:57], v[12:13], v[0:1]
	buffer_load_dword v0, off, s[28:31], 0 offset:136 ; 4-byte Folded Reload
	buffer_load_dword v1, off, s[28:31], 0 offset:140 ; 4-byte Folded Reload
	global_load_dwordx2 v[38:39], v[44:45], off
	s_nop 0
	buffer_store_dword v50, off, s[28:31], 0 offset:740 ; 4-byte Folded Spill
	s_nop 0
	buffer_store_dword v51, off, s[28:31], 0 offset:744 ; 4-byte Folded Spill
	buffer_store_dword v52, off, s[28:31], 0 offset:748 ; 4-byte Folded Spill
	;; [unrolled: 1-line block ×3, first 2 shown]
	v_mul_f64 v[56:57], v[16:17], v[56:57]
	buffer_load_dword v16, off, s[28:31], 0 offset:32 ; 4-byte Folded Reload
	buffer_load_dword v17, off, s[28:31], 0 offset:36 ; 4-byte Folded Reload
	v_fma_f64 v[6:7], v[12:13], v[56:57], v[2:3]
	s_waitcnt vmcnt(9)
	v_mul_f64 v[56:57], v[48:49], v[48:49]
	s_waitcnt vmcnt(7)
	v_mul_f64 v[4:5], v[34:35], v[0:1]
	;; [unrolled: 2-line block ×3, first 2 shown]
	v_mul_f64 v[4:5], v[0:1], v[4:5]
	v_fma_f64 v[4:5], v[34:35], v[4:5], v[56:57]
	v_mul_f64 v[56:57], v[34:35], v[50:51]
	s_waitcnt vmcnt(0)
	v_mul_f64 v[4:5], v[16:17], v[4:5]
	v_mul_f64 v[56:57], v[50:51], v[56:57]
	v_fma_f64 v[56:57], v[34:35], v[56:57], v[62:63]
	v_fma_f64 v[62:63], v[16:17], 2.0, v[42:43]
	v_mov_b32_e32 v16, v34
	v_mov_b32_e32 v17, v35
	;; [unrolled: 1-line block ×4, first 2 shown]
	v_mul_f64 v[0:1], v[62:63], v[40:41]
	buffer_store_dword v0, off, s[28:31], 0 offset:492 ; 4-byte Folded Spill
	s_nop 0
	buffer_store_dword v1, off, s[28:31], 0 offset:496 ; 4-byte Folded Spill
	v_mul_f64 v[62:63], v[12:13], v[0:1]
	v_mul_f64 v[62:63], v[40:41], v[62:63]
	buffer_store_dword v40, off, s[28:31], 0 offset:908 ; 4-byte Folded Spill
	s_nop 0
	buffer_store_dword v41, off, s[28:31], 0 offset:912 ; 4-byte Folded Spill
	buffer_load_dword v0, off, s[28:31], 0 offset:416 ; 4-byte Folded Reload
	buffer_load_dword v1, off, s[28:31], 0 offset:420 ; 4-byte Folded Reload
	v_fma_f64 v[62:63], v[12:13], v[62:63], v[4:5]
	s_waitcnt vmcnt(0)
	v_mul_f64 v[4:5], v[0:1], v[56:57]
	global_load_dwordx2 v[0:1], v[58:59], off
	buffer_load_dword v2, off, s[28:31], 0 offset:144 ; 4-byte Folded Reload
	buffer_load_dword v3, off, s[28:31], 0 offset:148 ; 4-byte Folded Reload
	s_waitcnt vmcnt(2)
	v_mov_b32_e32 v59, v1
	v_mul_f64 v[56:57], v[0:1], v[0:1]
	v_mov_b32_e32 v58, v0
	buffer_load_dword v26, off, s[28:31], 0 offset:40 ; 4-byte Folded Reload
	buffer_load_dword v27, off, s[28:31], 0 offset:44 ; 4-byte Folded Reload
	;; [unrolled: 1-line block ×4, first 2 shown]
	s_waitcnt vmcnt(4)
	v_mul_f64 v[52:53], v[34:35], v[2:3]
	v_mul_f64 v[52:53], v[2:3], v[52:53]
	v_fma_f64 v[52:53], v[34:35], v[52:53], v[56:57]
	v_mov_b32_e32 v37, v15
	v_mov_b32_e32 v36, v14
	;; [unrolled: 1-line block ×5, first 2 shown]
	s_waitcnt vmcnt(2)
	v_mul_f64 v[52:53], v[26:27], v[52:53]
	s_waitcnt vmcnt(0)
	v_fma_f64 v[56:57], v[26:27], 2.0, v[0:1]
	v_mul_f64 v[0:1], v[56:57], v[32:33]
	buffer_store_dword v0, off, s[28:31], 0 offset:504 ; 4-byte Folded Spill
	s_nop 0
	buffer_store_dword v1, off, s[28:31], 0 offset:508 ; 4-byte Folded Spill
	v_mul_f64 v[56:57], v[12:13], v[0:1]
	v_mul_f64 v[56:57], v[32:33], v[56:57]
	buffer_store_dword v32, off, s[28:31], 0 offset:940 ; 4-byte Folded Spill
	s_nop 0
	buffer_store_dword v33, off, s[28:31], 0 offset:944 ; 4-byte Folded Spill
	buffer_load_dword v0, off, s[28:31], 0 offset:448 ; 4-byte Folded Reload
	buffer_load_dword v1, off, s[28:31], 0 offset:452 ; 4-byte Folded Reload
	;; [unrolled: 1-line block ×6, first 2 shown]
	global_load_dwordx4 v[42:45], v[20:21], off
	s_waitcnt vmcnt(0)
	buffer_store_dword v42, off, s[28:31], 0 offset:812 ; 4-byte Folded Spill
	s_nop 0
	buffer_store_dword v43, off, s[28:31], 0 offset:816 ; 4-byte Folded Spill
	buffer_store_dword v44, off, s[28:31], 0 offset:820 ; 4-byte Folded Spill
	;; [unrolled: 1-line block ×3, first 2 shown]
	v_fma_f64 v[2:3], v[12:13], v[56:57], v[52:53]
	v_mul_f64 v[52:53], v[0:1], v[24:25]
	v_mul_f64 v[52:53], v[12:13], v[52:53]
	;; [unrolled: 1-line block ×3, first 2 shown]
	v_fma_f64 v[0:1], v[12:13], v[52:53], v[4:5]
	buffer_load_dword v10, off, s[28:31], 0 offset:564 ; 4-byte Folded Reload
	buffer_load_dword v11, off, s[28:31], 0 offset:568 ; 4-byte Folded Reload
	;; [unrolled: 1-line block ×4, first 2 shown]
	v_add_f64 v[4:5], v[6:7], v[2:3]
	global_load_dwordx4 v[20:23], v[22:23], off
	s_waitcnt vmcnt(0)
	buffer_store_dword v20, off, s[28:31], 0 offset:892 ; 4-byte Folded Spill
	s_nop 0
	buffer_store_dword v21, off, s[28:31], 0 offset:896 ; 4-byte Folded Spill
	buffer_store_dword v22, off, s[28:31], 0 offset:900 ; 4-byte Folded Spill
	;; [unrolled: 1-line block ×3, first 2 shown]
	v_add_f64 v[52:53], v[62:63], v[0:1]
	v_add_f64 v[6:7], v[6:7], v[0:1]
	;; [unrolled: 1-line block ×3, first 2 shown]
	v_fma_f64 v[4:5], v[52:53], s[2:3], v[4:5]
	v_add_f64 v[52:53], v[42:43], -v[12:13]
	v_fma_f64 v[6:7], v[6:7], s[4:5], v[62:63]
	v_mul_f64 v[4:5], v[52:53], v[4:5]
	v_add_f64 v[52:53], v[20:21], -v[12:13]
	v_mov_b32_e32 v23, v19
	v_mov_b32_e32 v22, v18
	;; [unrolled: 1-line block ×6, first 2 shown]
	v_fma_f64 v[6:7], v[52:53], v[6:7], v[4:5]
	v_add_u32_e32 v4, s7, v8
	v_ashrrev_i32_e32 v5, 31, v4
	v_lshlrev_b64 v[4:5], 3, v[4:5]
	v_add_co_u32_e32 v8, vcc, s22, v4
	v_addc_co_u32_e32 v9, vcc, v9, v5, vcc
	global_load_dwordx2 v[10:11], v[8:9], off
	s_nop 0
	buffer_store_dword v28, off, s[28:31], 0 offset:924 ; 4-byte Folded Spill
	s_nop 0
	buffer_store_dword v29, off, s[28:31], 0 offset:928 ; 4-byte Folded Spill
	v_mov_b32_e32 v5, s17
	v_add_co_u32_e32 v14, vcc, s16, v54
	v_addc_co_u32_e32 v15, vcc, v5, v55, vcc
	v_mul_f64 v[8:9], v[16:17], v[28:29]
	s_waitcnt vmcnt(2)
	v_mul_f64 v[52:53], v[10:11], v[10:11]
	v_mul_f64 v[8:9], v[28:29], v[8:9]
	buffer_load_dword v28, off, s[28:31], 0 offset:88 ; 4-byte Folded Reload
	buffer_load_dword v29, off, s[28:31], 0 offset:92 ; 4-byte Folded Reload
	buffer_load_dword v50, off, s[28:31], 0 offset:1036 ; 4-byte Folded Reload
	buffer_load_dword v51, off, s[28:31], 0 offset:1040 ; 4-byte Folded Reload
	v_fma_f64 v[8:9], v[16:17], v[8:9], v[52:53]
	s_waitcnt vmcnt(2)
	v_mul_f64 v[8:9], v[28:29], v[8:9]
	s_waitcnt vmcnt(0)
	v_fma_f64 v[52:53], v[28:29], 2.0, v[50:51]
	v_mul_f64 v[4:5], v[52:53], v[30:31]
	buffer_store_dword v4, off, s[28:31], 0 offset:556 ; 4-byte Folded Spill
	s_nop 0
	buffer_store_dword v5, off, s[28:31], 0 offset:560 ; 4-byte Folded Spill
	global_load_dwordx4 v[16:19], v[14:15], off
	s_waitcnt vmcnt(0)
	buffer_store_dword v16, off, s[28:31], 0 offset:868 ; 4-byte Folded Spill
	s_nop 0
	buffer_store_dword v17, off, s[28:31], 0 offset:872 ; 4-byte Folded Spill
	buffer_store_dword v18, off, s[28:31], 0 offset:876 ; 4-byte Folded Spill
	;; [unrolled: 1-line block ×3, first 2 shown]
	v_mul_f64 v[54:55], v[34:35], v[4:5]
	v_mul_f64 v[54:55], v[30:31], v[54:55]
	v_mov_b32_e32 v31, v29
	v_mov_b32_e32 v30, v28
	;; [unrolled: 1-line block ×3, first 2 shown]
	v_fma_f64 v[8:9], v[34:35], v[54:55], v[8:9]
	v_add_f64 v[54:55], v[62:63], v[8:9]
	v_add_f64 v[0:1], v[0:1], v[8:9]
	v_fma_f64 v[62:63], v[56:57], s[2:3], v[54:55]
	v_fma_f64 v[0:1], v[0:1], s[4:5], v[2:3]
	v_add_f64 v[54:55], v[16:17], -v[12:13]
	v_mov_b32_e32 v16, v58
	v_mov_b32_e32 v17, v59
	v_fma_f64 v[6:7], v[54:55], v[62:63], v[6:7]
	v_add_co_u32_e32 v54, vcc, s16, v60
	v_addc_co_u32_e32 v55, vcc, v28, v61, vcc
	global_load_dwordx4 v[2:5], v[54:55], off
	s_waitcnt vmcnt(0)
	buffer_store_dword v2, off, s[28:31], 0 offset:964 ; 4-byte Folded Spill
	s_nop 0
	buffer_store_dword v3, off, s[28:31], 0 offset:968 ; 4-byte Folded Spill
	buffer_store_dword v4, off, s[28:31], 0 offset:972 ; 4-byte Folded Spill
	;; [unrolled: 1-line block ×3, first 2 shown]
	v_add_f64 v[2:3], v[2:3], -v[12:13]
	v_mov_b32_e32 v13, v11
	v_mov_b32_e32 v12, v10
	;; [unrolled: 1-line block ×3, first 2 shown]
	v_fma_f64 v[0:1], v[2:3], v[0:1], v[6:7]
	buffer_load_dword v2, off, s[28:31], 0 offset:252 ; 4-byte Folded Reload
	buffer_load_dword v3, off, s[28:31], 0 offset:256 ; 4-byte Folded Reload
	v_mul_f64 v[0:1], v[0:1], s[0:1]
	s_waitcnt vmcnt(0)
	v_div_fixup_f64 v[62:63], v[2:3], v[34:35], 1.0
	buffer_load_dword v2, off, s[28:31], 0 offset:400 ; 4-byte Folded Reload
	buffer_load_dword v3, off, s[28:31], 0 offset:404 ; 4-byte Folded Reload
	;; [unrolled: 1-line block ×4, first 2 shown]
	s_waitcnt vmcnt(2)
	v_mul_f64 v[2:3], v[2:3], s[0:1]
	s_waitcnt vmcnt(0)
	v_div_fixup_f64 v[4:5], v[4:5], v[20:21], 1.0
	buffer_store_dword v4, off, s[28:31], 0 offset:564 ; 4-byte Folded Spill
	s_nop 0
	buffer_store_dword v5, off, s[28:31], 0 offset:568 ; 4-byte Folded Spill
	buffer_load_dword v6, off, s[28:31], 0 offset:652 ; 4-byte Folded Reload
	buffer_load_dword v7, off, s[28:31], 0 offset:656 ; 4-byte Folded Reload
	v_fma_f64 v[2:3], v[62:63], v[2:3], 0
	v_mov_b32_e32 v20, v46
	v_mov_b32_e32 v21, v47
	s_waitcnt vmcnt(0)
	v_mul_f64 v[6:7], v[6:7], s[0:1]
	v_fma_f64 v[2:3], v[4:5], v[6:7], v[2:3]
	buffer_load_dword v6, off, s[28:31], 0 offset:1028 ; 4-byte Folded Reload
	buffer_load_dword v7, off, s[28:31], 0 offset:1032 ; 4-byte Folded Reload
	s_waitcnt vmcnt(0)
	v_fma_f64 v[2:3], v[6:7], s[0:1], v[2:3]
	v_mul_f64 v[6:7], v[4:5], v[62:63]
	v_fma_f64 v[0:1], v[6:7], v[0:1], v[2:3]
	buffer_store_dword v0, off, s[28:31], 0 offset:400 ; 4-byte Folded Spill
	s_nop 0
	buffer_store_dword v1, off, s[28:31], 0 offset:404 ; 4-byte Folded Spill
	buffer_load_dword v2, off, s[28:31], 0 offset:916 ; 4-byte Folded Reload
	buffer_load_dword v3, off, s[28:31], 0 offset:920 ; 4-byte Folded Reload
	;; [unrolled: 1-line block ×4, first 2 shown]
	v_mov_b32_e32 v1, s17
	v_mov_b32_e32 v7, s17
	s_waitcnt vmcnt(3)
	v_add_co_u32_e32 v0, vcc, s16, v2
	s_waitcnt vmcnt(2)
	v_addc_co_u32_e32 v1, vcc, v1, v3, vcc
	v_mov_b32_e32 v3, s17
	s_waitcnt vmcnt(1)
	v_add_co_u32_e32 v2, vcc, s16, v4
	s_waitcnt vmcnt(0)
	v_addc_co_u32_e32 v3, vcc, v3, v5, vcc
	buffer_load_dword v4, off, s[28:31], 0 offset:932 ; 4-byte Folded Reload
	buffer_load_dword v5, off, s[28:31], 0 offset:936 ; 4-byte Folded Reload
	s_waitcnt vmcnt(1)
	v_add_co_u32_e32 v6, vcc, s16, v4
	s_waitcnt vmcnt(0)
	v_addc_co_u32_e32 v7, vcc, v7, v5, vcc
	buffer_load_dword v4, off, s[28:31], 0 offset:980 ; 4-byte Folded Reload
	buffer_load_dword v5, off, s[28:31], 0 offset:984 ; 4-byte Folded Reload
	s_waitcnt vmcnt(0)
	v_mul_f64 v[8:9], v[4:5], v[24:25]
	buffer_load_dword v4, off, s[28:31], 0 offset:988 ; 4-byte Folded Reload
	buffer_load_dword v5, off, s[28:31], 0 offset:992 ; 4-byte Folded Reload
	v_mul_f64 v[8:9], v[8:9], v[38:39]
	s_waitcnt vmcnt(0)
	v_mul_f64 v[18:19], v[4:5], v[32:33]
	buffer_load_dword v26, off, s[28:31], 0 offset:1044 ; 4-byte Folded Reload
	buffer_load_dword v27, off, s[28:31], 0 offset:1048 ; 4-byte Folded Reload
	;; [unrolled: 1-line block ×4, first 2 shown]
	s_waitcnt vmcnt(0)
	v_mul_f64 v[38:39], v[4:5], v[26:27]
	buffer_load_dword v4, off, s[28:31], 0 offset:1004 ; 4-byte Folded Reload
	buffer_load_dword v5, off, s[28:31], 0 offset:1008 ; 4-byte Folded Reload
	s_nop 0
	buffer_store_dword v16, off, s[28:31], 0 offset:416 ; 4-byte Folded Spill
	s_nop 0
	buffer_store_dword v17, off, s[28:31], 0 offset:420 ; 4-byte Folded Spill
	buffer_store_dword v20, off, s[28:31], 0 offset:424 ; 4-byte Folded Spill
	s_nop 0
	buffer_store_dword v21, off, s[28:31], 0 offset:428 ; 4-byte Folded Spill
	;; [unrolled: 3-line block ×3, first 2 shown]
	global_load_dwordx2 v[2:3], v[2:3], off
	s_nop 0
	global_load_dwordx2 v[6:7], v[6:7], off
	s_waitcnt vmcnt(8)
	v_mul_f64 v[42:43], v[4:5], v[40:41]
	global_load_dwordx2 v[0:1], v[0:1], off
	s_nop 0
	buffer_load_dword v4, off, s[28:31], 0 offset:948 ; 4-byte Folded Reload
	buffer_load_dword v5, off, s[28:31], 0 offset:952 ; 4-byte Folded Reload
	v_mul_f64 v[44:45], v[18:19], v[16:17]
	s_waitcnt vmcnt(3)
	v_add_f64 v[6:7], v[6:7], -v[2:3]
	v_fma_f64 v[18:19], v[18:19], v[16:17], v[8:9]
	v_fma_f64 v[52:53], v[42:43], v[48:49], v[8:9]
	v_mul_f64 v[42:43], v[42:43], v[48:49]
	v_fma_f64 v[46:47], v[38:39], v[20:21], v[44:45]
	v_fma_f64 v[38:39], v[38:39], v[20:21], v[8:9]
	;; [unrolled: 1-line block ×4, first 2 shown]
	v_mul_f64 v[6:7], v[46:47], v[6:7]
	s_waitcnt vmcnt(2)
	v_add_f64 v[0:1], v[0:1], -v[2:3]
	v_fma_f64 v[0:1], v[38:39], v[0:1], v[6:7]
	v_mov_b32_e32 v7, s17
	s_waitcnt vmcnt(1)
	v_add_co_u32_e32 v6, vcc, s16, v4
	s_waitcnt vmcnt(0)
	v_addc_co_u32_e32 v7, vcc, v7, v5, vcc
	buffer_load_dword v4, off, s[28:31], 0 offset:1020 ; 4-byte Folded Reload
	buffer_load_dword v5, off, s[28:31], 0 offset:1024 ; 4-byte Folded Reload
	s_nop 0
	buffer_store_dword v12, off, s[28:31], 0 offset:448 ; 4-byte Folded Spill
	s_nop 0
	buffer_store_dword v13, off, s[28:31], 0 offset:452 ; 4-byte Folded Spill
	global_load_dwordx2 v[6:7], v[6:7], off
	s_waitcnt vmcnt(3)
	v_mul_f64 v[32:33], v[4:5], v[22:23]
	buffer_load_dword v4, off, s[28:31], 0 offset:1012 ; 4-byte Folded Reload
	buffer_load_dword v5, off, s[28:31], 0 offset:1016 ; 4-byte Folded Reload
	s_waitcnt vmcnt(2)
	v_add_f64 v[6:7], v[6:7], -v[2:3]
	v_fma_f64 v[38:39], v[32:33], v[12:13], v[42:43]
	v_fma_f64 v[8:9], v[32:33], v[12:13], v[8:9]
	v_mov_b32_e32 v32, s17
	v_fma_f64 v[18:19], v[18:19], s[2:3], v[38:39]
	v_fma_f64 v[8:9], v[8:9], s[4:5], v[44:45]
	s_mov_b32 s3, 0x3fe55555
	s_mov_b32 s2, s0
	v_fma_f64 v[0:1], v[18:19], v[6:7], v[0:1]
	v_mov_b32_e32 v7, s17
	v_mov_b32_e32 v18, s17
	s_waitcnt vmcnt(1)
	v_add_co_u32_e32 v6, vcc, s16, v4
	s_waitcnt vmcnt(0)
	v_addc_co_u32_e32 v7, vcc, v7, v5, vcc
	global_load_dwordx2 v[6:7], v[6:7], off
	s_waitcnt vmcnt(0)
	v_add_f64 v[2:3], v[6:7], -v[2:3]
	buffer_load_dword v4, off, s[28:31], 0 offset:244 ; 4-byte Folded Reload
	buffer_load_dword v5, off, s[28:31], 0 offset:636 ; 4-byte Folded Reload
	v_mov_b32_e32 v6, s17
	v_fma_f64 v[0:1], v[8:9], v[2:3], v[0:1]
	buffer_load_dword v2, off, s[28:31], 0 offset:644 ; 4-byte Folded Reload
	v_mov_b32_e32 v8, s17
	v_mul_f64 v[0:1], v[0:1], s[0:1]
	s_mov_b32 s1, 0x3fb55555
	s_waitcnt vmcnt(0)
	v_add_u32_e32 v10, s6, v2
	v_add3_u32 v29, v4, s8, v10
	buffer_load_dword v4, off, s[28:31], 0 offset:236 ; 4-byte Folded Reload
	buffer_load_dword v2, off, s[28:31], 0 offset:456 ; 4-byte Folded Reload
	s_waitcnt vmcnt(1)
	v_add3_u32 v34, v4, s8, v10
	buffer_load_dword v4, off, s[28:31], 0 offset:220 ; 4-byte Folded Reload
	s_waitcnt vmcnt(1)
	v_add3_u32 v28, v2, s8, v10
	v_add_u32_e32 v2, v28, v5
	v_ashrrev_i32_e32 v3, 31, v2
	v_lshlrev_b64 v[2:3], 3, v[2:3]
	v_add_co_u32_e32 v2, vcc, s16, v2
	v_addc_co_u32_e32 v3, vcc, v6, v3, vcc
	v_add_u32_e32 v6, v29, v5
	v_ashrrev_i32_e32 v7, 31, v6
	v_lshlrev_b64 v[6:7], 3, v[6:7]
	v_add_co_u32_e32 v6, vcc, s16, v6
	v_addc_co_u32_e32 v7, vcc, v8, v7, vcc
	;; [unrolled: 5-line block ×3, first 2 shown]
	s_waitcnt vmcnt(0)
	v_add3_u32 v35, v4, s8, v10
	buffer_load_dword v4, off, s[28:31], 0 offset:604 ; 4-byte Folded Reload
	v_add_u32_e32 v10, v35, v5
	v_ashrrev_i32_e32 v11, 31, v10
	v_lshlrev_b64 v[10:11], 3, v[10:11]
	v_add_co_u32_e32 v10, vcc, s16, v10
	v_addc_co_u32_e32 v11, vcc, v18, v11, vcc
	global_load_dwordx2 v[12:13], v[2:3], off
	s_nop 0
	global_load_dwordx2 v[6:7], v[6:7], off
	s_nop 0
	;; [unrolled: 2-line block ×4, first 2 shown]
	buffer_store_dword v0, off, s[28:31], 0 offset:456 ; 4-byte Folded Spill
	s_nop 0
	buffer_store_dword v1, off, s[28:31], 0 offset:460 ; 4-byte Folded Spill
	s_waitcnt vmcnt(6)
	v_add_u32_e32 v18, v28, v4
	v_ashrrev_i32_e32 v19, 31, v18
	v_lshlrev_b64 v[18:19], 3, v[18:19]
	v_add_u32_e32 v38, v34, v4
	v_add_co_u32_e32 v18, vcc, s16, v18
	v_addc_co_u32_e32 v19, vcc, v32, v19, vcc
	v_add_u32_e32 v32, v29, v4
	v_ashrrev_i32_e32 v33, 31, v32
	v_lshlrev_b64 v[32:33], 3, v[32:33]
	v_ashrrev_i32_e32 v39, 31, v38
	v_add_co_u32_e32 v32, vcc, s16, v32
	v_lshlrev_b64 v[38:39], 3, v[38:39]
	v_add_u32_e32 v42, v35, v4
	v_addc_co_u32_e32 v33, vcc, v36, v33, vcc
	v_ashrrev_i32_e32 v43, 31, v42
	v_add_co_u32_e32 v38, vcc, s16, v38
	v_lshlrev_b64 v[42:43], 3, v[42:43]
	v_addc_co_u32_e32 v39, vcc, v36, v39, vcc
	v_add_co_u32_e32 v42, vcc, s16, v42
	v_addc_co_u32_e32 v43, vcc, v36, v43, vcc
	global_load_dwordx2 v[18:19], v[18:19], off
	s_nop 0
	global_load_dwordx2 v[32:33], v[32:33], off
	s_nop 0
	;; [unrolled: 2-line block ×4, first 2 shown]
	buffer_load_dword v4, off, s[28:31], 0 offset:48 ; 4-byte Folded Reload
	buffer_load_dword v5, off, s[28:31], 0 offset:52 ; 4-byte Folded Reload
	;; [unrolled: 1-line block ×4, first 2 shown]
	s_waitcnt vmcnt(12)
	v_add_f64 v[0:1], v[12:13], -v[6:7]
	s_waitcnt vmcnt(10)
	v_add_f64 v[44:45], v[8:9], -v[10:11]
	v_mul_f64 v[0:1], v[0:1], s[0:1]
	v_fma_f64 v[0:1], v[44:45], s[2:3], -v[0:1]
	s_waitcnt vmcnt(6)
	v_add_f64 v[44:45], v[18:19], -v[32:33]
	v_add_f64 v[6:7], v[6:7], -v[32:33]
	s_waitcnt vmcnt(4)
	v_add_f64 v[46:47], v[38:39], -v[42:43]
	v_mul_f64 v[44:45], v[44:45], s[0:1]
	v_mul_f64 v[6:7], v[6:7], s[0:1]
	v_fma_f64 v[44:45], v[46:47], s[2:3], -v[44:45]
	s_waitcnt vmcnt(0)
	v_mul_f64 v[46:47], v[2:3], v[4:5]
	v_mul_f64 v[46:47], v[4:5], v[46:47]
	buffer_load_dword v2, off, s[28:31], 0 offset:64 ; 4-byte Folded Reload
	buffer_load_dword v3, off, s[28:31], 0 offset:68 ; 4-byte Folded Reload
	buffer_load_dword v4, off, s[28:31], 0 offset:24 ; 4-byte Folded Reload
	buffer_load_dword v5, off, s[28:31], 0 offset:28 ; 4-byte Folded Reload
	v_mul_f64 v[44:45], v[46:47], v[44:45]
	s_waitcnt vmcnt(0)
	v_mul_f64 v[46:47], v[4:5], v[2:3]
	v_mul_f64 v[46:47], v[2:3], v[46:47]
	v_fma_f64 v[0:1], v[46:47], v[0:1], -v[44:45]
	buffer_store_dword v0, off, s[28:31], 0 offset:220 ; 4-byte Folded Spill
	s_nop 0
	buffer_store_dword v1, off, s[28:31], 0 offset:224 ; 4-byte Folded Spill
	buffer_load_dword v2, off, s[28:31], 0 offset:612 ; 4-byte Folded Reload
	s_waitcnt vmcnt(0)
	v_add_u32_e32 v0, v28, v2
	v_ashrrev_i32_e32 v1, 31, v0
	v_lshlrev_b64 v[0:1], 3, v[0:1]
	v_add_u32_e32 v44, v29, v2
	v_ashrrev_i32_e32 v45, 31, v44
	v_add_co_u32_e32 v0, vcc, s16, v0
	v_lshlrev_b64 v[44:45], 3, v[44:45]
	v_add_u32_e32 v46, v34, v2
	v_addc_co_u32_e32 v1, vcc, v36, v1, vcc
	v_ashrrev_i32_e32 v47, 31, v46
	v_add_co_u32_e32 v44, vcc, s16, v44
	v_lshlrev_b64 v[46:47], 3, v[46:47]
	v_add_u32_e32 v52, v35, v2
	v_addc_co_u32_e32 v45, vcc, v36, v45, vcc
	v_ashrrev_i32_e32 v53, 31, v52
	buffer_load_dword v2, off, s[28:31], 0 offset:596 ; 4-byte Folded Reload
	v_add_co_u32_e32 v46, vcc, s16, v46
	v_lshlrev_b64 v[52:53], 3, v[52:53]
	v_addc_co_u32_e32 v47, vcc, v36, v47, vcc
	v_add_co_u32_e32 v52, vcc, s16, v52
	v_addc_co_u32_e32 v53, vcc, v36, v53, vcc
	global_load_dwordx2 v[4:5], v[0:1], off
	s_nop 0
	global_load_dwordx2 v[44:45], v[44:45], off
	s_nop 0
	;; [unrolled: 2-line block ×3, first 2 shown]
	global_load_dwordx2 v[52:53], v[52:53], off
	s_waitcnt vmcnt(4)
	v_add_u32_e32 v60, v28, v2
	v_ashrrev_i32_e32 v61, 31, v60
	v_lshlrev_b64 v[60:61], 3, v[60:61]
	v_add_u32_e32 v48, v29, v2
	v_ashrrev_i32_e32 v49, 31, v48
	v_add_u32_e32 v36, v34, v2
	v_add_u32_e32 v56, v35, v2
	v_mov_b32_e32 v28, s17
	s_waitcnt vmcnt(2)
	v_add_f64 v[34:35], v[4:5], -v[44:45]
	v_add_co_u32_e32 v60, vcc, s16, v60
	v_lshlrev_b64 v[48:49], 3, v[48:49]
	v_addc_co_u32_e32 v61, vcc, v28, v61, vcc
	v_ashrrev_i32_e32 v37, 31, v36
	v_add_co_u32_e32 v48, vcc, s16, v48
	v_lshlrev_b64 v[36:37], 3, v[36:37]
	v_addc_co_u32_e32 v49, vcc, v28, v49, vcc
	v_ashrrev_i32_e32 v57, 31, v56
	v_add_co_u32_e32 v36, vcc, s16, v36
	v_lshlrev_b64 v[56:57], 3, v[56:57]
	v_addc_co_u32_e32 v37, vcc, v28, v37, vcc
	v_add_co_u32_e32 v56, vcc, s16, v56
	v_addc_co_u32_e32 v57, vcc, v28, v57, vcc
	v_mul_f64 v[34:35], v[34:35], s[0:1]
	s_waitcnt vmcnt(0)
	v_add_f64 v[28:29], v[46:47], -v[52:53]
	v_fma_f64 v[28:29], v[28:29], s[2:3], -v[34:35]
	global_load_dwordx2 v[34:35], v[60:61], off
	s_nop 0
	global_load_dwordx2 v[48:49], v[48:49], off
	s_nop 0
	;; [unrolled: 2-line block ×3, first 2 shown]
	global_load_dwordx2 v[56:57], v[56:57], off
	s_waitcnt vmcnt(2)
	v_add_f64 v[60:61], v[34:35], -v[48:49]
	s_waitcnt vmcnt(0)
	v_add_f64 v[58:59], v[36:37], -v[56:57]
	v_mul_f64 v[60:61], v[60:61], s[0:1]
	v_fma_f64 v[58:59], v[58:59], s[2:3], -v[60:61]
	buffer_load_dword v60, off, s[28:31], 0 ; 4-byte Folded Reload
	buffer_load_dword v61, off, s[28:31], 0 offset:4 ; 4-byte Folded Reload
	buffer_load_dword v0, off, s[28:31], 0 offset:56 ; 4-byte Folded Reload
	;; [unrolled: 1-line block ×3, first 2 shown]
	s_waitcnt vmcnt(0)
	v_mul_f64 v[60:61], v[60:61], v[0:1]
	v_mul_f64 v[60:61], v[0:1], v[60:61]
	buffer_load_dword v0, off, s[28:31], 0 offset:8 ; 4-byte Folded Reload
	buffer_load_dword v1, off, s[28:31], 0 offset:12 ; 4-byte Folded Reload
	;; [unrolled: 1-line block ×4, first 2 shown]
	v_mul_f64 v[58:59], v[60:61], v[58:59]
	s_waitcnt vmcnt(0)
	v_mul_f64 v[60:61], v[0:1], v[2:3]
	v_mul_f64 v[60:61], v[2:3], v[60:61]
	v_add_f64 v[2:3], v[12:13], -v[18:19]
	v_add_f64 v[18:19], v[44:45], -v[48:49]
	v_fma_f64 v[0:1], v[60:61], v[28:29], -v[58:59]
	buffer_store_dword v0, off, s[28:31], 0 offset:244 ; 4-byte Folded Spill
	s_nop 0
	buffer_store_dword v1, off, s[28:31], 0 offset:248 ; 4-byte Folded Spill
	v_add_f64 v[0:1], v[4:5], -v[34:35]
	v_mul_f64 v[2:3], v[2:3], s[0:1]
	v_fma_f64 v[6:7], v[18:19], s[2:3], -v[6:7]
	v_mul_f64 v[18:19], v[50:51], v[22:23]
	v_fma_f64 v[0:1], v[0:1], s[2:3], -v[2:3]
	buffer_load_dword v2, off, s[28:31], 0 offset:532 ; 4-byte Folded Reload
	buffer_load_dword v3, off, s[28:31], 0 offset:536 ; 4-byte Folded Reload
	;; [unrolled: 1-line block ×4, first 2 shown]
	s_waitcnt vmcnt(2)
	v_mul_f64 v[2:3], v[2:3], v[6:7]
	v_add_f64 v[6:7], v[46:47], -v[36:37]
	s_waitcnt vmcnt(0)
	v_fma_f64 v[0:1], v[4:5], v[0:1], -v[2:3]
	buffer_store_dword v0, off, s[28:31], 0 offset:236 ; 4-byte Folded Spill
	s_nop 0
	buffer_store_dword v1, off, s[28:31], 0 offset:240 ; 4-byte Folded Spill
	buffer_load_dword v4, off, s[28:31], 0 offset:268 ; 4-byte Folded Reload
	buffer_load_dword v5, off, s[28:31], 0 offset:272 ; 4-byte Folded Reload
	v_add_f64 v[0:1], v[10:11], -v[42:43]
	v_add_f64 v[2:3], v[8:9], -v[38:39]
	;; [unrolled: 1-line block ×3, first 2 shown]
	v_mul_f64 v[0:1], v[0:1], s[0:1]
	v_mul_f64 v[2:3], v[2:3], s[0:1]
	v_fma_f64 v[0:1], v[8:9], s[2:3], -v[0:1]
	v_fma_f64 v[2:3], v[6:7], s[2:3], -v[2:3]
	s_waitcnt vmcnt(0)
	v_mul_f64 v[0:1], v[4:5], v[0:1]
	buffer_load_dword v4, off, s[28:31], 0 offset:540 ; 4-byte Folded Reload
	buffer_load_dword v5, off, s[28:31], 0 offset:544 ; 4-byte Folded Reload
	s_waitcnt vmcnt(0)
	v_fma_f64 v[0:1], v[4:5], v[2:3], -v[0:1]
	buffer_store_dword v0, off, s[28:31], 0 offset:252 ; 4-byte Folded Spill
	s_nop 0
	buffer_store_dword v1, off, s[28:31], 0 offset:256 ; 4-byte Folded Spill
	buffer_load_dword v1, off, s[28:31], 0 offset:852 ; 4-byte Folded Reload
	s_nop 0
	buffer_load_dword v2, off, s[28:31], 0 offset:856 ; 4-byte Folded Reload
	v_mov_b32_e32 v0, s23
	s_waitcnt vmcnt(1)
	v_add_co_u32_e32 v10, vcc, s22, v1
	s_waitcnt vmcnt(0)
	v_addc_co_u32_e32 v11, vcc, v0, v2, vcc
	buffer_load_dword v0, off, s[28:31], 0 offset:844 ; 4-byte Folded Reload
	buffer_load_dword v1, off, s[28:31], 0 offset:848 ; 4-byte Folded Reload
	s_waitcnt vmcnt(0)
	global_load_dwordx2 v[34:35], v[0:1], off offset:16
	s_nop 0
	global_load_dwordx4 v[0:3], v[0:1], off offset:-16
	s_nop 0
	buffer_load_dword v22, off, s[28:31], 0 offset:828 ; 4-byte Folded Reload
	buffer_load_dword v23, off, s[28:31], 0 offset:832 ; 4-byte Folded Reload
	buffer_load_dword v24, off, s[28:31], 0 offset:836 ; 4-byte Folded Reload
	buffer_load_dword v25, off, s[28:31], 0 offset:840 ; 4-byte Folded Reload
	s_waitcnt vmcnt(4)
	v_add_f64 v[6:7], v[34:35], -v[0:1]
	s_waitcnt vmcnt(0)
	v_add_f64 v[8:9], v[24:25], -v[2:3]
	v_mul_f64 v[6:7], v[6:7], s[0:1]
	v_fma_f64 v[12:13], v[8:9], s[2:3], -v[6:7]
	global_load_dwordx2 v[36:37], v[54:55], off offset:16
	global_load_dwordx4 v[6:9], v[54:55], off offset:-16
	buffer_load_dword v38, off, s[28:31], 0 offset:964 ; 4-byte Folded Reload
	buffer_load_dword v39, off, s[28:31], 0 offset:968 ; 4-byte Folded Reload
	;; [unrolled: 1-line block ×4, first 2 shown]
	global_load_dwordx2 v[4:5], v[10:11], off
	s_nop 0
	buffer_load_dword v10, off, s[28:31], 0 offset:924 ; 4-byte Folded Reload
	buffer_load_dword v11, off, s[28:31], 0 offset:928 ; 4-byte Folded Reload
	;; [unrolled: 1-line block ×6, first 2 shown]
	s_waitcnt vmcnt(11)
	v_add_f64 v[22:23], v[36:37], -v[6:7]
	s_waitcnt vmcnt(7)
	v_mov_b32_e32 v38, v40
	v_mov_b32_e32 v39, v41
	v_add_f64 v[28:29], v[38:39], -v[8:9]
	s_waitcnt vmcnt(4)
	v_mul_f64 v[10:11], v[30:31], v[10:11]
	v_mul_f64 v[18:19], v[18:19], v[4:5]
	v_mov_b32_e32 v49, v5
	v_mov_b32_e32 v48, v4
	v_mul_f64 v[22:23], v[22:23], s[0:1]
	buffer_store_dword v48, off, s[28:31], 0 offset:636 ; 4-byte Folded Spill
	s_nop 0
	buffer_store_dword v49, off, s[28:31], 0 offset:640 ; 4-byte Folded Spill
	v_fma_f64 v[22:23], v[28:29], s[2:3], -v[22:23]
	v_mul_f64 v[28:29], v[10:11], v[4:5]
	v_mul_f64 v[10:11], v[28:29], v[22:23]
	s_waitcnt vmcnt(4)
	v_mul_f64 v[10:11], v[50:51], v[10:11]
	v_mul_f64 v[10:11], v[62:63], v[10:11]
	v_fma_f64 v[4:5], v[18:19], v[12:13], v[10:11]
	buffer_store_dword v4, off, s[28:31], 0 offset:260 ; 4-byte Folded Spill
	s_nop 0
	buffer_store_dword v5, off, s[28:31], 0 offset:264 ; 4-byte Folded Spill
	buffer_load_dword v4, off, s[28:31], 0 offset:716 ; 4-byte Folded Reload
	s_nop 0
	buffer_load_dword v5, off, s[28:31], 0 offset:720 ; 4-byte Folded Reload
	v_mov_b32_e32 v11, s23
	s_waitcnt vmcnt(1)
	v_add_co_u32_e32 v10, vcc, s22, v4
	s_waitcnt vmcnt(0)
	v_addc_co_u32_e32 v11, vcc, v11, v5, vcc
	buffer_load_dword v4, off, s[28:31], 0 offset:860 ; 4-byte Folded Reload
	buffer_load_dword v5, off, s[28:31], 0 offset:864 ; 4-byte Folded Reload
	;; [unrolled: 1-line block ×6, first 2 shown]
	s_waitcnt vmcnt(4)
	v_mul_f64 v[16:17], v[4:5], v[26:27]
	s_waitcnt vmcnt(0)
	v_mov_b32_e32 v12, v20
	v_mov_b32_e32 v13, v21
	v_add_f64 v[4:5], v[24:25], -v[12:13]
	buffer_store_dword v4, off, s[28:31], 0 offset:596 ; 4-byte Folded Spill
	s_nop 0
	buffer_store_dword v5, off, s[28:31], 0 offset:600 ; 4-byte Folded Spill
	buffer_load_dword v4, off, s[28:31], 0 offset:708 ; 4-byte Folded Reload
	s_nop 0
	buffer_load_dword v5, off, s[28:31], 0 offset:712 ; 4-byte Folded Reload
	s_waitcnt vmcnt(0)
	global_load_dwordx4 v[30:33], v[4:5], off offset:-16
	s_waitcnt vmcnt(0)
	v_add_f64 v[18:19], v[12:13], -v[32:33]
	v_add_f64 v[12:13], v[0:1], -v[30:31]
	v_add_f64 v[0:1], v[2:3], -v[32:33]
	buffer_store_dword v0, off, s[28:31], 0 offset:588 ; 4-byte Folded Spill
	s_nop 0
	buffer_store_dword v1, off, s[28:31], 0 offset:592 ; 4-byte Folded Spill
	global_load_dwordx2 v[24:25], v[4:5], off offset:16
	s_nop 0
	buffer_load_dword v0, off, s[28:31], 0 offset:892 ; 4-byte Folded Reload
	buffer_load_dword v1, off, s[28:31], 0 offset:896 ; 4-byte Folded Reload
	;; [unrolled: 1-line block ×4, first 2 shown]
	s_waitcnt vmcnt(4)
	v_add_f64 v[22:23], v[24:25], -v[30:31]
	s_waitcnt vmcnt(0)
	v_mov_b32_e32 v21, v3
	v_mov_b32_e32 v20, v2
	v_add_f64 v[0:1], v[38:39], -v[20:21]
	buffer_store_dword v0, off, s[28:31], 0 offset:612 ; 4-byte Folded Spill
	s_nop 0
	buffer_store_dword v1, off, s[28:31], 0 offset:616 ; 4-byte Folded Spill
	buffer_load_dword v4, off, s[28:31], 0 offset:884 ; 4-byte Folded Reload
	buffer_load_dword v5, off, s[28:31], 0 offset:888 ; 4-byte Folded Reload
	s_waitcnt vmcnt(0)
	global_load_dwordx4 v[0:3], v[4:5], off offset:-16
	s_waitcnt vmcnt(0)
	v_add_f64 v[30:31], v[20:21], -v[2:3]
	v_add_f64 v[2:3], v[8:9], -v[2:3]
	buffer_store_dword v2, off, s[28:31], 0 offset:604 ; 4-byte Folded Spill
	s_nop 0
	buffer_store_dword v3, off, s[28:31], 0 offset:608 ; 4-byte Folded Spill
	global_load_dwordx2 v[38:39], v[4:5], off offset:16
	v_add_f64 v[32:33], v[6:7], -v[0:1]
	global_load_dwordx2 v[8:9], v[10:11], off
	buffer_load_dword v4, off, s[28:31], 0 offset:80 ; 4-byte Folded Reload
	buffer_load_dword v5, off, s[28:31], 0 offset:84 ; 4-byte Folded Reload
	;; [unrolled: 1-line block ×4, first 2 shown]
	v_mul_f64 v[2:3], v[22:23], s[0:1]
	v_fma_f64 v[2:3], v[18:19], s[2:3], -v[2:3]
	s_waitcnt vmcnt(5)
	v_add_f64 v[0:1], v[38:39], -v[0:1]
	s_waitcnt vmcnt(4)
	v_mov_b32_e32 v59, v9
	s_waitcnt vmcnt(0)
	v_mul_f64 v[6:7], v[4:5], v[6:7]
	v_mov_b32_e32 v58, v8
	buffer_store_dword v58, off, s[28:31], 0 offset:644 ; 4-byte Folded Spill
	s_nop 0
	buffer_store_dword v59, off, s[28:31], 0 offset:648 ; 4-byte Folded Spill
	v_mul_f64 v[0:1], v[0:1], s[0:1]
	v_mul_f64 v[10:11], v[6:7], v[8:9]
	;; [unrolled: 1-line block ×3, first 2 shown]
	v_fma_f64 v[0:1], v[30:31], s[2:3], -v[0:1]
	v_mul_f64 v[0:1], v[10:11], v[0:1]
	v_mul_f64 v[0:1], v[50:51], v[0:1]
	;; [unrolled: 1-line block ×3, first 2 shown]
	v_fma_f64 v[0:1], v[6:7], v[2:3], v[0:1]
	buffer_store_dword v0, off, s[28:31], 0 offset:268 ; 4-byte Folded Spill
	s_nop 0
	buffer_store_dword v1, off, s[28:31], 0 offset:272 ; 4-byte Folded Spill
	buffer_load_dword v1, off, s[28:31], 0 offset:780 ; 4-byte Folded Reload
	s_nop 0
	buffer_load_dword v2, off, s[28:31], 0 offset:784 ; 4-byte Folded Reload
	v_mov_b32_e32 v0, s23
	s_waitcnt vmcnt(1)
	v_add_co_u32_e32 v6, vcc, s22, v1
	s_waitcnt vmcnt(0)
	v_addc_co_u32_e32 v7, vcc, v0, v2, vcc
	buffer_load_dword v0, off, s[28:31], 0 offset:96 ; 4-byte Folded Reload
	buffer_load_dword v1, off, s[28:31], 0 offset:100 ; 4-byte Folded Reload
	;; [unrolled: 1-line block ×4, first 2 shown]
	s_waitcnt vmcnt(0)
	v_mul_f64 v[8:9], v[0:1], v[2:3]
	buffer_load_dword v0, off, s[28:31], 0 offset:772 ; 4-byte Folded Reload
	buffer_load_dword v1, off, s[28:31], 0 offset:776 ; 4-byte Folded Reload
	s_waitcnt vmcnt(0)
	global_load_dwordx2 v[26:27], v[0:1], off offset:16
	s_nop 0
	global_load_dwordx4 v[0:3], v[0:1], off offset:-16
	s_nop 0
	buffer_load_dword v42, off, s[28:31], 0 offset:756 ; 4-byte Folded Reload
	buffer_load_dword v43, off, s[28:31], 0 offset:760 ; 4-byte Folded Reload
	;; [unrolled: 1-line block ×4, first 2 shown]
	s_waitcnt vmcnt(4)
	v_add_f64 v[16:17], v[26:27], -v[0:1]
	s_waitcnt vmcnt(0)
	v_add_f64 v[18:19], v[44:45], -v[2:3]
	v_mul_f64 v[16:17], v[16:17], s[0:1]
	v_fma_f64 v[20:21], v[18:19], s[2:3], -v[16:17]
	global_load_dwordx2 v[30:31], v[14:15], off offset:16
	global_load_dwordx4 v[16:19], v[14:15], off offset:-16
	buffer_load_dword v54, off, s[28:31], 0 offset:868 ; 4-byte Folded Reload
	buffer_load_dword v55, off, s[28:31], 0 offset:872 ; 4-byte Folded Reload
	buffer_load_dword v56, off, s[28:31], 0 offset:876 ; 4-byte Folded Reload
	buffer_load_dword v57, off, s[28:31], 0 offset:880 ; 4-byte Folded Reload
	s_waitcnt vmcnt(4)
	v_add_f64 v[4:5], v[30:31], -v[16:17]
	s_waitcnt vmcnt(0)
	v_add_f64 v[22:23], v[56:57], -v[18:19]
	global_load_dwordx2 v[14:15], v[6:7], off
	v_mul_f64 v[4:5], v[4:5], s[0:1]
	v_fma_f64 v[4:5], v[22:23], s[2:3], -v[4:5]
	buffer_load_dword v6, off, s[28:31], 0 offset:40 ; 4-byte Folded Reload
	buffer_load_dword v7, off, s[28:31], 0 offset:44 ; 4-byte Folded Reload
	;; [unrolled: 1-line block ×4, first 2 shown]
	s_waitcnt vmcnt(4)
	v_mov_b32_e32 v61, v15
	v_mov_b32_e32 v60, v14
	s_waitcnt vmcnt(0)
	v_mul_f64 v[6:7], v[6:7], v[22:23]
	v_mul_f64 v[6:7], v[6:7], v[14:15]
	buffer_store_dword v6, off, s[28:31], 0 offset:540 ; 4-byte Folded Spill
	s_nop 0
	buffer_store_dword v7, off, s[28:31], 0 offset:544 ; 4-byte Folded Spill
	buffer_store_dword v60, off, s[28:31], 0 offset:652 ; 4-byte Folded Spill
	s_nop 0
	buffer_store_dword v61, off, s[28:31], 0 offset:656 ; 4-byte Folded Spill
	v_mul_f64 v[4:5], v[6:7], v[4:5]
	v_mul_f64 v[6:7], v[8:9], v[14:15]
	;; [unrolled: 1-line block ×4, first 2 shown]
	v_fma_f64 v[4:5], v[6:7], v[20:21], v[4:5]
	buffer_store_dword v4, off, s[28:31], 0 offset:144 ; 4-byte Folded Spill
	s_nop 0
	buffer_store_dword v5, off, s[28:31], 0 offset:148 ; 4-byte Folded Spill
	buffer_load_dword v5, off, s[28:31], 0 offset:700 ; 4-byte Folded Reload
	s_nop 0
	buffer_load_dword v6, off, s[28:31], 0 offset:704 ; 4-byte Folded Reload
	v_mov_b32_e32 v4, s23
	s_waitcnt vmcnt(1)
	v_add_co_u32_e32 v40, vcc, s22, v5
	s_waitcnt vmcnt(0)
	v_addc_co_u32_e32 v41, vcc, v4, v6, vcc
	buffer_load_dword v4, off, s[28:31], 0 offset:788 ; 4-byte Folded Reload
	buffer_load_dword v5, off, s[28:31], 0 offset:792 ; 4-byte Folded Reload
	;; [unrolled: 1-line block ×4, first 2 shown]
	s_waitcnt vmcnt(0)
	v_mul_f64 v[42:43], v[4:5], v[6:7]
	buffer_load_dword v4, off, s[28:31], 0 offset:684 ; 4-byte Folded Reload
	buffer_load_dword v5, off, s[28:31], 0 offset:688 ; 4-byte Folded Reload
	;; [unrolled: 1-line block ×6, first 2 shown]
	s_waitcnt vmcnt(2)
	v_mov_b32_e32 v4, v6
	v_mov_b32_e32 v5, v7
	s_waitcnt vmcnt(0)
	global_load_dwordx4 v[6:9], v[14:15], off offset:-16
	v_add_f64 v[54:55], v[44:45], -v[4:5]
	s_waitcnt vmcnt(0)
	v_add_f64 v[44:45], v[4:5], -v[8:9]
	v_add_f64 v[4:5], v[2:3], -v[8:9]
	global_load_dwordx2 v[2:3], v[14:15], off offset:16
	buffer_load_dword v20, off, s[28:31], 0 offset:812 ; 4-byte Folded Reload
	buffer_load_dword v21, off, s[28:31], 0 offset:816 ; 4-byte Folded Reload
	;; [unrolled: 1-line block ×4, first 2 shown]
	s_nop 0
	buffer_load_dword v14, off, s[28:31], 0 offset:804 ; 4-byte Folded Reload
	buffer_load_dword v15, off, s[28:31], 0 offset:808 ; 4-byte Folded Reload
	v_add_f64 v[0:1], v[0:1], -v[6:7]
	s_waitcnt vmcnt(6)
	v_add_f64 v[8:9], v[2:3], -v[6:7]
	s_waitcnt vmcnt(2)
	v_mov_b32_e32 v47, v23
	v_mov_b32_e32 v46, v22
	s_waitcnt vmcnt(0)
	global_load_dwordx4 v[20:23], v[14:15], off offset:-16
	v_add_f64 v[6:7], v[56:57], -v[46:47]
	global_load_dwordx2 v[14:15], v[14:15], off offset:16
	v_add_f64 v[2:3], v[26:27], -v[2:3]
	v_mul_f64 v[8:9], v[8:9], s[0:1]
	v_fma_f64 v[8:9], v[44:45], s[2:3], -v[8:9]
	s_waitcnt vmcnt(1)
	v_add_f64 v[46:47], v[46:47], -v[22:23]
	v_add_f64 v[56:57], v[18:19], -v[22:23]
	global_load_dwordx2 v[22:23], v[40:41], off
	s_waitcnt vmcnt(0)
	buffer_store_dword v22, off, s[28:31], 0 offset:96 ; 4-byte Folded Spill
	s_nop 0
	buffer_store_dword v23, off, s[28:31], 0 offset:100 ; 4-byte Folded Spill
	v_add_f64 v[16:17], v[16:17], -v[20:21]
	v_add_f64 v[18:19], v[14:15], -v[20:21]
	buffer_load_dword v20, off, s[28:31], 0 offset:32 ; 4-byte Folded Reload
	buffer_load_dword v21, off, s[28:31], 0 offset:36 ; 4-byte Folded Reload
	;; [unrolled: 1-line block ×4, first 2 shown]
	v_add_f64 v[14:15], v[30:31], -v[14:15]
	v_mul_f64 v[18:19], v[18:19], s[0:1]
	v_fma_f64 v[18:19], v[46:47], s[2:3], -v[18:19]
	s_waitcnt vmcnt(0)
	v_mul_f64 v[20:21], v[20:21], v[40:41]
	v_mul_f64 v[20:21], v[20:21], v[22:23]
	buffer_store_dword v20, off, s[28:31], 0 offset:532 ; 4-byte Folded Spill
	s_nop 0
	buffer_store_dword v21, off, s[28:31], 0 offset:536 ; 4-byte Folded Spill
	v_mul_f64 v[18:19], v[20:21], v[18:19]
	v_mul_f64 v[20:21], v[42:43], v[22:23]
	;; [unrolled: 1-line block ×4, first 2 shown]
	v_fma_f64 v[8:9], v[20:21], v[8:9], v[18:19]
	buffer_store_dword v8, off, s[28:31], 0 offset:136 ; 4-byte Folded Spill
	s_nop 0
	buffer_store_dword v9, off, s[28:31], 0 offset:140 ; 4-byte Folded Spill
	buffer_load_dword v22, off, s[28:31], 0 offset:668 ; 4-byte Folded Reload
	buffer_load_dword v23, off, s[28:31], 0 offset:672 ; 4-byte Folded Reload
	v_add_f64 v[8:9], v[36:37], -v[38:39]
	v_mul_f64 v[8:9], v[8:9], s[0:1]
	v_fma_f64 v[8:9], v[14:15], s[2:3], -v[8:9]
	s_waitcnt vmcnt(0)
	global_load_dwordx2 v[18:19], v[22:23], off offset:16
	buffer_load_dword v36, off, s[28:31], 0 offset:628 ; 4-byte Folded Reload
	buffer_load_dword v37, off, s[28:31], 0 offset:632 ; 4-byte Folded Reload
	;; [unrolled: 1-line block ×4, first 2 shown]
	s_waitcnt vmcnt(2)
	v_mul_f64 v[18:19], v[36:37], v[18:19]
	s_waitcnt vmcnt(0)
	global_load_dwordx2 v[20:21], v[38:39], off offset:16
	buffer_load_dword v30, off, s[28:31], 0 offset:288 ; 4-byte Folded Reload
	buffer_load_dword v31, off, s[28:31], 0 offset:292 ; 4-byte Folded Reload
	s_waitcnt vmcnt(2)
	v_mul_f64 v[20:21], v[36:37], v[20:21]
	s_waitcnt vmcnt(0)
	v_mul_f64 v[18:19], v[30:31], v[18:19]
	v_mul_f64 v[14:15], v[30:31], v[20:21]
	buffer_load_dword v20, off, s[28:31], 0 offset:620 ; 4-byte Folded Reload
	buffer_load_dword v21, off, s[28:31], 0 offset:624 ; 4-byte Folded Reload
	v_mul_f64 v[8:9], v[8:9], v[14:15]
	v_add_f64 v[14:15], v[34:35], -v[24:25]
	v_mul_f64 v[14:15], v[14:15], s[0:1]
	v_fma_f64 v[2:3], v[2:3], s[2:3], -v[14:15]
	s_waitcnt vmcnt(0)
	v_mul_f64 v[8:9], v[20:21], v[8:9]
	v_mul_f64 v[8:9], v[62:63], v[8:9]
	v_fma_f64 v[2:3], v[2:3], v[18:19], v[8:9]
	buffer_store_dword v2, off, s[28:31], 0 offset:288 ; 4-byte Folded Spill
	s_nop 0
	buffer_store_dword v3, off, s[28:31], 0 offset:292 ; 4-byte Folded Spill
	buffer_load_dword v2, off, s[28:31], 0 offset:580 ; 4-byte Folded Reload
	s_nop 0
	buffer_load_dword v3, off, s[28:31], 0 offset:584 ; 4-byte Folded Reload
	buffer_load_dword v18, off, s[28:31], 0 offset:152 ; 4-byte Folded Reload
	;; [unrolled: 1-line block ×5, first 2 shown]
	s_waitcnt vmcnt(0)
	v_mul_f64 v[34:35], v[2:3], v[20:21]
	buffer_load_dword v18, off, s[28:31], 0 offset:740 ; 4-byte Folded Reload
	buffer_load_dword v19, off, s[28:31], 0 offset:744 ; 4-byte Folded Reload
	;; [unrolled: 1-line block ×4, first 2 shown]
	global_load_dwordx4 v[24:27], v[38:39], off offset:-16
	s_waitcnt vmcnt(1)
	v_mul_f64 v[30:31], v[2:3], v[20:21]
	v_mul_f64 v[2:3], v[32:33], s[0:1]
	v_fma_f64 v[2:3], v[16:17], s[2:3], -v[2:3]
	buffer_load_dword v16, off, s[28:31], 0 offset:464 ; 4-byte Folded Reload
	buffer_load_dword v17, off, s[28:31], 0 offset:468 ; 4-byte Folded Reload
	;; [unrolled: 1-line block ×6, first 2 shown]
	s_waitcnt vmcnt(4)
	v_mul_f64 v[8:9], v[16:17], v[24:25]
	s_waitcnt vmcnt(2)
	v_mul_f64 v[8:9], v[18:19], v[8:9]
	v_mul_f64 v[8:9], v[2:3], v[8:9]
	;; [unrolled: 1-line block ×3, first 2 shown]
	global_load_dwordx4 v[12:15], v[22:23], off offset:-16
	s_nop 0
	buffer_load_dword v22, off, s[28:31], 0 offset:372 ; 4-byte Folded Reload
	buffer_load_dword v23, off, s[28:31], 0 offset:376 ; 4-byte Folded Reload
	;; [unrolled: 1-line block ×4, first 2 shown]
	v_fma_f64 v[2:3], v[0:1], s[2:3], -v[2:3]
	s_waitcnt vmcnt(2)
	v_mul_f64 v[8:9], v[22:23], v[8:9]
	v_mul_f64 v[0:1], v[16:17], v[12:13]
	v_mov_b32_e32 v16, v18
	v_mov_b32_e32 v17, v19
	;; [unrolled: 1-line block ×4, first 2 shown]
	v_mul_f64 v[8:9], v[62:63], v[8:9]
	v_mul_f64 v[0:1], v[16:17], v[0:1]
	v_fma_f64 v[0:1], v[2:3], v[0:1], v[8:9]
	buffer_store_dword v0, off, s[28:31], 0 offset:152 ; 4-byte Folded Spill
	s_nop 0
	buffer_store_dword v1, off, s[28:31], 0 offset:156 ; 4-byte Folded Spill
	buffer_load_dword v0, off, s[28:31], 0 offset:432 ; 4-byte Folded Reload
	s_nop 0
	buffer_load_dword v1, off, s[28:31], 0 offset:436 ; 4-byte Folded Reload
	buffer_load_dword v2, off, s[28:31], 0 offset:440 ; 4-byte Folded Reload
	;; [unrolled: 1-line block ×5, first 2 shown]
	s_waitcnt vmcnt(2)
	v_mul_f64 v[0:1], v[2:3], v[34:35]
	s_waitcnt vmcnt(0)
	v_mul_f64 v[8:9], v[8:9], s[0:1]
	v_mul_f64 v[2:3], v[2:3], v[30:31]
	v_fma_f64 v[6:7], v[6:7], s[2:3], -v[8:9]
	buffer_load_dword v8, off, s[28:31], 0 offset:228 ; 4-byte Folded Reload
	buffer_load_dword v9, off, s[28:31], 0 offset:232 ; 4-byte Folded Reload
	buffer_load_dword v12, off, s[28:31], 0 offset:596 ; 4-byte Folded Reload
	buffer_load_dword v13, off, s[28:31], 0 offset:600 ; 4-byte Folded Reload
	v_mul_f64 v[2:3], v[6:7], v[2:3]
	v_mul_f64 v[2:3], v[52:53], v[2:3]
	;; [unrolled: 1-line block ×3, first 2 shown]
	s_waitcnt vmcnt(2)
	v_mul_f64 v[6:7], v[8:9], v[14:15]
	s_waitcnt vmcnt(0)
	v_mul_f64 v[12:13], v[12:13], s[0:1]
	v_mul_f64 v[8:9], v[8:9], v[26:27]
	v_fma_f64 v[12:13], v[54:55], s[2:3], -v[12:13]
	v_fma_f64 v[0:1], v[12:13], v[0:1], v[2:3]
	v_mov_b32_e32 v2, v18
	buffer_store_dword v0, off, s[28:31], 0 offset:120 ; 4-byte Folded Spill
	s_nop 0
	buffer_store_dword v1, off, s[28:31], 0 offset:124 ; 4-byte Folded Spill
	v_mov_b32_e32 v3, v19
	v_mul_f64 v[0:1], v[2:3], v[6:7]
	buffer_load_dword v6, off, s[28:31], 0 offset:604 ; 4-byte Folded Reload
	buffer_load_dword v7, off, s[28:31], 0 offset:608 ; 4-byte Folded Reload
	v_mul_f64 v[2:3], v[2:3], v[8:9]
	v_mov_b32_e32 v9, s17
	s_waitcnt vmcnt(0)
	v_mul_f64 v[6:7], v[6:7], s[0:1]
	v_fma_f64 v[6:7], v[56:57], s[2:3], -v[6:7]
	v_mul_f64 v[2:3], v[6:7], v[2:3]
	buffer_load_dword v6, off, s[28:31], 0 offset:588 ; 4-byte Folded Reload
	buffer_load_dword v7, off, s[28:31], 0 offset:592 ; 4-byte Folded Reload
	v_mul_f64 v[2:3], v[24:25], v[2:3]
	v_mul_f64 v[2:3], v[62:63], v[2:3]
	s_waitcnt vmcnt(0)
	v_mul_f64 v[6:7], v[6:7], s[0:1]
	v_fma_f64 v[4:5], v[4:5], s[2:3], -v[6:7]
	v_mov_b32_e32 v6, s17
	v_fma_f64 v[0:1], v[4:5], v[0:1], v[2:3]
	buffer_store_dword v0, off, s[28:31], 0 offset:228 ; 4-byte Folded Spill
	s_nop 0
	buffer_store_dword v1, off, s[28:31], 0 offset:232 ; 4-byte Folded Spill
	buffer_load_dword v37, off, s[28:31], 0 offset:500 ; 4-byte Folded Reload
	buffer_load_dword v4, off, s[28:31], 0 offset:548 ; 4-byte Folded Reload
	;; [unrolled: 1-line block ×5, first 2 shown]
	v_mov_b32_e32 v3, s17
	s_waitcnt vmcnt(3)
	v_add3_u32 v0, v37, v4, s6
	v_add_u32_e32 v15, s6, v0
	v_ashrrev_i32_e32 v16, 31, v15
	buffer_store_dword v15, off, s[28:31], 0 offset:472 ; 4-byte Folded Spill
	s_nop 0
	buffer_store_dword v16, off, s[28:31], 0 offset:476 ; 4-byte Folded Spill
	v_ashrrev_i32_e32 v1, 31, v0
	v_lshlrev_b64 v[1:2], 3, v[0:1]
	v_mov_b32_e32 v12, v4
	v_add_co_u32_e32 v1, vcc, s16, v1
	v_addc_co_u32_e32 v2, vcc, v3, v2, vcc
	s_waitcnt vmcnt(4)
	v_add3_u32 v3, v35, v4, s6
	v_ashrrev_i32_e32 v4, 31, v3
	v_lshlrev_b64 v[4:5], 3, v[3:4]
	v_add_u32_e32 v17, s6, v3
	v_add_co_u32_e32 v4, vcc, s16, v4
	v_addc_co_u32_e32 v5, vcc, v6, v5, vcc
	s_waitcnt vmcnt(3)
	v_add3_u32 v6, v36, v12, s6
	v_ashrrev_i32_e32 v7, 31, v6
	v_lshlrev_b64 v[7:8], 3, v[6:7]
	s_waitcnt vmcnt(2)
	v_add3_u32 v12, v34, v12, s6
	v_ashrrev_i32_e32 v13, 31, v12
	v_add_co_u32_e32 v7, vcc, s16, v7
	v_lshlrev_b64 v[13:14], 3, v[12:13]
	v_addc_co_u32_e32 v8, vcc, v9, v8, vcc
	v_add_co_u32_e32 v13, vcc, s16, v13
	v_addc_co_u32_e32 v14, vcc, v9, v14, vcc
	v_ashrrev_i32_e32 v18, 31, v17
	v_add_u32_e32 v19, s6, v6
	v_add_u32_e32 v21, s6, v12
	v_mov_b32_e32 v0, s17
	buffer_store_dword v17, off, s[28:31], 0 offset:548 ; 4-byte Folded Spill
	s_nop 0
	buffer_store_dword v18, off, s[28:31], 0 offset:552 ; 4-byte Folded Spill
	v_ashrrev_i32_e32 v20, 31, v19
	v_ashrrev_i32_e32 v22, 31, v21
	buffer_store_dword v19, off, s[28:31], 0 offset:580 ; 4-byte Folded Spill
	s_nop 0
	buffer_store_dword v20, off, s[28:31], 0 offset:584 ; 4-byte Folded Spill
	buffer_store_dword v21, off, s[28:31], 0 offset:588 ; 4-byte Folded Spill
	s_nop 0
	buffer_store_dword v22, off, s[28:31], 0 offset:592 ; 4-byte Folded Spill
	v_mov_b32_e32 v6, s17
	v_lshlrev_b64 v[15:16], 3, v[15:16]
	v_add_co_u32_e32 v15, vcc, s16, v15
	v_addc_co_u32_e32 v16, vcc, v0, v16, vcc
	global_load_dwordx2 v[23:24], v[15:16], off
	s_waitcnt vmcnt(0)
	buffer_store_dword v23, off, s[28:31], 0 offset:684 ; 4-byte Folded Spill
	s_nop 0
	buffer_store_dword v24, off, s[28:31], 0 offset:688 ; 4-byte Folded Spill
	v_lshlrev_b64 v[17:18], 3, v[17:18]
	v_lshlrev_b64 v[19:20], 3, v[19:20]
	v_add_co_u32_e32 v17, vcc, s16, v17
	v_addc_co_u32_e32 v18, vcc, v0, v18, vcc
	global_load_dwordx2 v[15:16], v[17:18], off
	v_add_co_u32_e32 v19, vcc, s16, v19
	v_addc_co_u32_e32 v20, vcc, v0, v20, vcc
	s_waitcnt vmcnt(0)
	buffer_store_dword v15, off, s[28:31], 0 offset:668 ; 4-byte Folded Spill
	s_nop 0
	buffer_store_dword v16, off, s[28:31], 0 offset:672 ; 4-byte Folded Spill
	global_load_dwordx2 v[19:20], v[19:20], off
	v_lshlrev_b64 v[21:22], 3, v[21:22]
	s_waitcnt vmcnt(0)
	buffer_store_dword v19, off, s[28:31], 0 offset:660 ; 4-byte Folded Spill
	s_nop 0
	buffer_store_dword v20, off, s[28:31], 0 offset:664 ; 4-byte Folded Spill
	v_add_co_u32_e32 v21, vcc, s16, v21
	v_addc_co_u32_e32 v22, vcc, v0, v22, vcc
	global_load_dwordx2 v[17:18], v[21:22], off
	s_waitcnt vmcnt(0)
	buffer_store_dword v17, off, s[28:31], 0 offset:620 ; 4-byte Folded Spill
	s_nop 0
	buffer_store_dword v18, off, s[28:31], 0 offset:624 ; 4-byte Folded Spill
	v_add_f64 v[15:16], v[23:24], -v[15:16]
	v_mul_f64 v[15:16], v[15:16], s[0:1]
	v_add_f64 v[17:18], v[19:20], -v[17:18]
	v_fma_f64 v[15:16], v[17:18], s[2:3], -v[15:16]
	buffer_load_dword v17, off, s[28:31], 0 offset:556 ; 4-byte Folded Reload
	buffer_load_dword v18, off, s[28:31], 0 offset:560 ; 4-byte Folded Reload
	s_waitcnt vmcnt(0)
	v_mul_f64 v[17:18], v[17:18], v[48:49]
	v_mul_f64 v[15:16], v[17:18], v[15:16]
	global_load_dwordx2 v[17:18], v[1:2], off
	s_waitcnt vmcnt(0)
	buffer_store_dword v17, off, s[28:31], 0 offset:700 ; 4-byte Folded Spill
	s_nop 0
	buffer_store_dword v18, off, s[28:31], 0 offset:704 ; 4-byte Folded Spill
	global_load_dwordx2 v[0:1], v[4:5], off
	s_waitcnt vmcnt(0)
	buffer_store_dword v0, off, s[28:31], 0 offset:676 ; 4-byte Folded Spill
	s_nop 0
	buffer_store_dword v1, off, s[28:31], 0 offset:680 ; 4-byte Folded Spill
	;; [unrolled: 5-line block ×4, first 2 shown]
	buffer_load_dword v47, off, s[28:31], 0 offset:104 ; 4-byte Folded Reload
	buffer_load_dword v48, off, s[28:31], 0 offset:108 ; 4-byte Folded Reload
	;; [unrolled: 1-line block ×6, first 2 shown]
	v_add_f64 v[0:1], v[17:18], -v[0:1]
	v_mul_f64 v[0:1], v[0:1], s[0:1]
	v_add_f64 v[2:3], v[4:5], -v[2:3]
	v_fma_f64 v[0:1], v[2:3], s[2:3], -v[0:1]
	s_waitcnt vmcnt(4)
	v_mul_f64 v[2:3], v[47:48], v[15:16]
	s_waitcnt vmcnt(0)
	v_mul_f64 v[2:3], v[32:33], v[2:3]
	v_fma_f64 v[0:1], v[28:29], v[0:1], v[2:3]
	buffer_store_dword v0, off, s[28:31], 0 offset:372 ; 4-byte Folded Spill
	s_nop 0
	buffer_store_dword v1, off, s[28:31], 0 offset:376 ; 4-byte Folded Spill
	buffer_load_dword v4, off, s[28:31], 0 offset:516 ; 4-byte Folded Reload
	v_mov_b32_e32 v3, s17
	s_waitcnt vmcnt(0)
	v_add3_u32 v0, v37, v4, s6
	v_add_u32_e32 v15, s6, v0
	v_ashrrev_i32_e32 v16, 31, v15
	buffer_store_dword v15, off, s[28:31], 0 offset:516 ; 4-byte Folded Spill
	s_nop 0
	buffer_store_dword v16, off, s[28:31], 0 offset:520 ; 4-byte Folded Spill
	v_ashrrev_i32_e32 v1, 31, v0
	v_lshlrev_b64 v[1:2], 3, v[0:1]
	v_mov_b32_e32 v12, v4
	v_add_co_u32_e32 v1, vcc, s16, v1
	v_addc_co_u32_e32 v2, vcc, v3, v2, vcc
	v_add3_u32 v3, v35, v4, s6
	v_ashrrev_i32_e32 v4, 31, v3
	v_lshlrev_b64 v[4:5], 3, v[3:4]
	v_add_u32_e32 v17, s6, v3
	v_add_co_u32_e32 v4, vcc, s16, v4
	v_addc_co_u32_e32 v5, vcc, v6, v5, vcc
	v_add3_u32 v6, v36, v12, s6
	v_ashrrev_i32_e32 v7, 31, v6
	v_lshlrev_b64 v[7:8], 3, v[6:7]
	v_add3_u32 v12, v34, v12, s6
	v_ashrrev_i32_e32 v13, 31, v12
	v_add_co_u32_e32 v7, vcc, s16, v7
	v_lshlrev_b64 v[13:14], 3, v[12:13]
	v_addc_co_u32_e32 v8, vcc, v9, v8, vcc
	v_ashrrev_i32_e32 v18, 31, v17
	v_add_co_u32_e32 v13, vcc, s16, v13
	buffer_store_dword v17, off, s[28:31], 0 offset:556 ; 4-byte Folded Spill
	s_nop 0
	buffer_store_dword v18, off, s[28:31], 0 offset:560 ; 4-byte Folded Spill
	v_add_u32_e32 v19, s6, v6
	v_addc_co_u32_e32 v14, vcc, v9, v14, vcc
	v_ashrrev_i32_e32 v20, 31, v19
	v_add_u32_e32 v21, s6, v12
	v_mov_b32_e32 v0, s17
	buffer_store_dword v19, off, s[28:31], 0 offset:596 ; 4-byte Folded Spill
	s_nop 0
	buffer_store_dword v20, off, s[28:31], 0 offset:600 ; 4-byte Folded Spill
	v_ashrrev_i32_e32 v22, 31, v21
	buffer_store_dword v21, off, s[28:31], 0 offset:604 ; 4-byte Folded Spill
	s_nop 0
	buffer_store_dword v22, off, s[28:31], 0 offset:608 ; 4-byte Folded Spill
	v_mov_b32_e32 v6, s17
	v_mov_b32_e32 v12, s17
	v_lshlrev_b64 v[15:16], 3, v[15:16]
	v_add_co_u32_e32 v15, vcc, s16, v15
	v_addc_co_u32_e32 v16, vcc, v0, v16, vcc
	global_load_dwordx2 v[15:16], v[15:16], off
	s_waitcnt vmcnt(0)
	buffer_store_dword v15, off, s[28:31], 0 offset:740 ; 4-byte Folded Spill
	s_nop 0
	buffer_store_dword v16, off, s[28:31], 0 offset:744 ; 4-byte Folded Spill
	v_lshlrev_b64 v[17:18], 3, v[17:18]
	v_lshlrev_b64 v[19:20], 3, v[19:20]
	v_add_co_u32_e32 v17, vcc, s16, v17
	v_addc_co_u32_e32 v18, vcc, v0, v18, vcc
	v_add_co_u32_e32 v19, vcc, s16, v19
	v_addc_co_u32_e32 v20, vcc, v0, v20, vcc
	global_load_dwordx2 v[51:52], v[17:18], off
	s_nop 0
	global_load_dwordx2 v[19:20], v[19:20], off
	v_lshlrev_b64 v[21:22], 3, v[21:22]
	s_waitcnt vmcnt(0)
	buffer_store_dword v19, off, s[28:31], 0 offset:724 ; 4-byte Folded Spill
	s_nop 0
	buffer_store_dword v20, off, s[28:31], 0 offset:728 ; 4-byte Folded Spill
	v_add_co_u32_e32 v21, vcc, s16, v21
	v_addc_co_u32_e32 v22, vcc, v0, v22, vcc
	global_load_dwordx2 v[17:18], v[21:22], off
	s_waitcnt vmcnt(0)
	buffer_store_dword v17, off, s[28:31], 0 offset:708 ; 4-byte Folded Spill
	s_nop 0
	buffer_store_dword v18, off, s[28:31], 0 offset:712 ; 4-byte Folded Spill
	v_add_f64 v[15:16], v[15:16], -v[51:52]
	v_mul_f64 v[15:16], v[15:16], s[0:1]
	v_add_f64 v[17:18], v[19:20], -v[17:18]
	v_fma_f64 v[15:16], v[17:18], s[2:3], -v[15:16]
	buffer_load_dword v17, off, s[28:31], 0 offset:524 ; 4-byte Folded Reload
	buffer_load_dword v18, off, s[28:31], 0 offset:528 ; 4-byte Folded Reload
	s_waitcnt vmcnt(0)
	v_mul_f64 v[17:18], v[17:18], v[58:59]
	global_load_dwordx2 v[45:46], v[1:2], off
	global_load_dwordx2 v[58:59], v[4:5], off
	s_nop 0
	global_load_dwordx2 v[4:5], v[7:8], off
	s_waitcnt vmcnt(0)
	buffer_store_dword v4, off, s[28:31], 0 offset:716 ; 4-byte Folded Spill
	s_nop 0
	buffer_store_dword v5, off, s[28:31], 0 offset:720 ; 4-byte Folded Spill
	global_load_dwordx2 v[2:3], v[13:14], off
	s_waitcnt vmcnt(0)
	buffer_store_dword v2, off, s[28:31], 0 offset:524 ; 4-byte Folded Spill
	s_nop 0
	buffer_store_dword v3, off, s[28:31], 0 offset:528 ; 4-byte Folded Spill
	v_add_f64 v[0:1], v[45:46], -v[58:59]
	v_mul_f64 v[18:19], v[17:18], v[15:16]
	v_mul_f64 v[0:1], v[0:1], s[0:1]
	v_add_f64 v[2:3], v[4:5], -v[2:3]
	v_fma_f64 v[0:1], v[2:3], s[2:3], -v[0:1]
	v_mul_f64 v[2:3], v[47:48], v[18:19]
	v_mul_f64 v[2:3], v[32:33], v[2:3]
	v_fma_f64 v[0:1], v[10:11], v[0:1], v[2:3]
	buffer_store_dword v0, off, s[28:31], 0 offset:432 ; 4-byte Folded Spill
	s_nop 0
	buffer_store_dword v1, off, s[28:31], 0 offset:436 ; 4-byte Folded Spill
	buffer_load_dword v4, off, s[28:31], 0 offset:512 ; 4-byte Folded Reload
	v_mov_b32_e32 v3, s17
	s_waitcnt vmcnt(0)
	v_add3_u32 v0, v37, v4, s6
	v_ashrrev_i32_e32 v1, 31, v0
	v_lshlrev_b64 v[1:2], 3, v[0:1]
	v_mov_b32_e32 v10, v4
	v_add_co_u32_e32 v1, vcc, s16, v1
	v_addc_co_u32_e32 v2, vcc, v3, v2, vcc
	v_add3_u32 v3, v35, v4, s6
	v_ashrrev_i32_e32 v4, 31, v3
	v_lshlrev_b64 v[4:5], 3, v[3:4]
	v_add_u32_e32 v53, s6, v0
	v_add_co_u32_e32 v4, vcc, s16, v4
	v_addc_co_u32_e32 v5, vcc, v6, v5, vcc
	v_add3_u32 v6, v36, v10, s6
	v_ashrrev_i32_e32 v7, 31, v6
	v_lshlrev_b64 v[7:8], 3, v[6:7]
	v_ashrrev_i32_e32 v54, 31, v53
	v_add_co_u32_e32 v7, vcc, s16, v7
	v_addc_co_u32_e32 v8, vcc, v9, v8, vcc
	v_add3_u32 v9, v34, v10, s6
	v_ashrrev_i32_e32 v10, 31, v9
	v_lshlrev_b64 v[10:11], 3, v[9:10]
	v_mov_b32_e32 v0, s17
	v_add_co_u32_e32 v10, vcc, s16, v10
	v_addc_co_u32_e32 v11, vcc, v12, v11, vcc
	v_lshlrev_b64 v[12:13], 3, v[53:54]
	v_add_u32_e32 v54, s6, v3
	v_ashrrev_i32_e32 v55, 31, v54
	v_add_co_u32_e32 v12, vcc, s16, v12
	v_lshlrev_b64 v[14:15], 3, v[54:55]
	v_addc_co_u32_e32 v13, vcc, v0, v13, vcc
	v_add_u32_e32 v55, s6, v6
	v_add_co_u32_e32 v18, vcc, s16, v14
	v_ashrrev_i32_e32 v56, 31, v55
	v_addc_co_u32_e32 v19, vcc, v0, v15, vcc
	v_lshlrev_b64 v[14:15], 3, v[55:56]
	v_add_u32_e32 v56, s6, v9
	v_add_co_u32_e32 v22, vcc, s16, v14
	v_ashrrev_i32_e32 v57, 31, v56
	v_addc_co_u32_e32 v23, vcc, v0, v15, vcc
	v_lshlrev_b64 v[14:15], 3, v[56:57]
	v_add_co_u32_e32 v26, vcc, s16, v14
	v_addc_co_u32_e32 v27, vcc, v0, v15, vcc
	global_load_dwordx2 v[20:21], v[12:13], off
	global_load_dwordx2 v[24:25], v[18:19], off
	;; [unrolled: 1-line block ×4, first 2 shown]
	buffer_load_dword v14, off, s[28:31], 0 offset:504 ; 4-byte Folded Reload
	buffer_load_dword v15, off, s[28:31], 0 offset:508 ; 4-byte Folded Reload
	s_waitcnt vmcnt(4)
	v_add_f64 v[12:13], v[20:21], -v[24:25]
	s_waitcnt vmcnt(2)
	v_add_f64 v[18:19], v[30:31], -v[43:44]
	v_mul_f64 v[12:13], v[12:13], s[0:1]
	v_fma_f64 v[12:13], v[18:19], s[2:3], -v[12:13]
	s_waitcnt vmcnt(0)
	v_mul_f64 v[18:19], v[14:15], v[60:61]
	v_mul_f64 v[26:27], v[18:19], v[12:13]
	global_load_dwordx2 v[18:19], v[1:2], off
	global_load_dwordx2 v[22:23], v[4:5], off
	;; [unrolled: 1-line block ×4, first 2 shown]
	s_nop 0
	buffer_load_dword v4, off, s[28:31], 0 offset:540 ; 4-byte Folded Reload
	buffer_load_dword v5, off, s[28:31], 0 offset:544 ; 4-byte Folded Reload
	s_waitcnt vmcnt(4)
	v_add_f64 v[0:1], v[18:19], -v[22:23]
	s_waitcnt vmcnt(2)
	v_add_f64 v[2:3], v[28:29], -v[38:39]
	v_mul_f64 v[0:1], v[0:1], s[0:1]
	v_fma_f64 v[0:1], v[2:3], s[2:3], -v[0:1]
	v_mul_f64 v[2:3], v[47:48], v[26:27]
	v_mul_f64 v[2:3], v[32:33], v[2:3]
	s_waitcnt vmcnt(0)
	v_fma_f64 v[0:1], v[4:5], v[0:1], v[2:3]
	buffer_store_dword v0, off, s[28:31], 0 offset:464 ; 4-byte Folded Spill
	s_nop 0
	buffer_store_dword v1, off, s[28:31], 0 offset:468 ; 4-byte Folded Spill
	buffer_load_dword v4, off, s[28:31], 0 offset:488 ; 4-byte Folded Reload
	v_mov_b32_e32 v3, s17
	s_waitcnt vmcnt(0)
	v_add3_u32 v0, v37, v4, s6
	v_ashrrev_i32_e32 v1, 31, v0
	v_lshlrev_b64 v[1:2], 3, v[0:1]
	v_mov_b32_e32 v7, v4
	v_add_co_u32_e32 v16, vcc, s16, v1
	v_add3_u32 v1, v35, v4, s6
	v_addc_co_u32_e32 v17, vcc, v3, v2, vcc
	v_ashrrev_i32_e32 v2, 31, v1
	v_lshlrev_b64 v[2:3], 3, v[1:2]
	v_mov_b32_e32 v4, s17
	v_add_co_u32_e32 v14, vcc, s16, v2
	v_addc_co_u32_e32 v15, vcc, v4, v3, vcc
	v_add3_u32 v4, v36, v7, s6
	v_ashrrev_i32_e32 v5, 31, v4
	v_lshlrev_b64 v[5:6], 3, v[4:5]
	v_mov_b32_e32 v2, s17
	v_add_co_u32_e32 v12, vcc, s16, v5
	v_add3_u32 v5, v34, v7, s6
	v_addc_co_u32_e32 v13, vcc, v2, v6, vcc
	v_ashrrev_i32_e32 v6, 31, v5
	v_lshlrev_b64 v[6:7], 3, v[5:6]
	v_add_u32_e32 v40, s6, v0
	v_add_co_u32_e32 v10, vcc, s16, v6
	v_ashrrev_i32_e32 v41, 31, v40
	v_addc_co_u32_e32 v11, vcc, v2, v7, vcc
	v_lshlrev_b64 v[6:7], 3, v[40:41]
	v_add_u32_e32 v36, s6, v1
	v_mov_b32_e32 v0, s17
	v_add_co_u32_e32 v8, vcc, s16, v6
	v_ashrrev_i32_e32 v37, 31, v36
	v_addc_co_u32_e32 v9, vcc, v0, v7, vcc
	v_lshlrev_b64 v[0:1], 3, v[36:37]
	v_add_u32_e32 v34, s6, v4
	v_ashrrev_i32_e32 v35, 31, v34
	v_add_co_u32_e32 v6, vcc, s16, v0
	v_lshlrev_b64 v[26:27], 3, v[34:35]
	v_addc_co_u32_e32 v7, vcc, v2, v1, vcc
	v_mov_b32_e32 v0, s17
	v_add_co_u32_e32 v2, vcc, s16, v26
	v_add_u32_e32 v26, s6, v5
	v_addc_co_u32_e32 v3, vcc, v0, v27, vcc
	v_ashrrev_i32_e32 v27, 31, v26
	v_lshlrev_b64 v[4:5], 3, v[26:27]
	v_mov_b32_e32 v1, s17
	v_add_co_u32_e32 v0, vcc, s16, v4
	v_addc_co_u32_e32 v1, vcc, v1, v5, vcc
	global_load_dwordx2 v[8:9], v[8:9], off
	s_nop 0
	global_load_dwordx2 v[4:5], v[6:7], off
	s_nop 0
	;; [unrolled: 2-line block ×3, first 2 shown]
	global_load_dwordx2 v[6:7], v[0:1], off
	buffer_load_dword v60, off, s[28:31], 0 offset:96 ; 4-byte Folded Reload
	buffer_load_dword v61, off, s[28:31], 0 offset:100 ; 4-byte Folded Reload
	;; [unrolled: 1-line block ×4, first 2 shown]
	s_waitcnt vmcnt(6)
	v_add_f64 v[0:1], v[8:9], -v[4:5]
	v_add_f64 v[8:9], v[20:21], -v[8:9]
	s_waitcnt vmcnt(4)
	v_add_f64 v[62:63], v[2:3], -v[6:7]
	v_add_f64 v[4:5], v[24:25], -v[4:5]
	;; [unrolled: 1-line block ×3, first 2 shown]
	v_mul_f64 v[0:1], v[0:1], s[0:1]
	v_fma_f64 v[0:1], v[62:63], s[2:3], -v[0:1]
	s_waitcnt vmcnt(0)
	v_mul_f64 v[62:63], v[41:42], v[60:61]
	v_mul_f64 v[62:63], v[62:63], v[0:1]
	global_load_dwordx2 v[16:17], v[16:17], off
	s_nop 0
	global_load_dwordx2 v[14:15], v[14:15], off
	s_nop 0
	;; [unrolled: 2-line block ×4, first 2 shown]
	buffer_load_dword v41, off, s[28:31], 0 offset:532 ; 4-byte Folded Reload
	buffer_load_dword v42, off, s[28:31], 0 offset:536 ; 4-byte Folded Reload
	s_waitcnt vmcnt(4)
	v_add_f64 v[12:13], v[16:17], -v[14:15]
	v_add_f64 v[16:17], v[18:19], -v[16:17]
	s_waitcnt vmcnt(2)
	v_add_f64 v[60:61], v[0:1], -v[10:11]
	v_add_f64 v[14:15], v[22:23], -v[14:15]
	;; [unrolled: 1-line block ×3, first 2 shown]
	v_mul_f64 v[12:13], v[12:13], s[0:1]
	v_fma_f64 v[12:13], v[60:61], s[2:3], -v[12:13]
	v_mul_f64 v[60:61], v[47:48], v[62:63]
	v_mul_f64 v[60:61], v[32:33], v[60:61]
	s_waitcnt vmcnt(0)
	v_fma_f64 v[12:13], v[41:42], v[12:13], v[60:61]
	buffer_store_dword v12, off, s[28:31], 0 offset:360 ; 4-byte Folded Spill
	s_nop 0
	buffer_store_dword v13, off, s[28:31], 0 offset:364 ; 4-byte Folded Spill
	buffer_load_dword v60, off, s[28:31], 0 offset:388 ; 4-byte Folded Reload
	buffer_load_dword v61, off, s[28:31], 0 offset:392 ; 4-byte Folded Reload
	buffer_load_dword v27, off, s[28:31], 0 offset:348 ; 4-byte Folded Reload
	buffer_load_dword v41, off, s[28:31], 0 offset:700 ; 4-byte Folded Reload
	buffer_load_dword v42, off, s[28:31], 0 offset:704 ; 4-byte Folded Reload
	v_mov_b32_e32 v13, s23
	s_waitcnt vmcnt(4)
	v_add_co_u32_e32 v12, vcc, s22, v60
	s_waitcnt vmcnt(2)
	v_add_u32_e32 v62, s7, v27
	s_waitcnt vmcnt(0)
	v_add_f64 v[41:42], v[41:42], -v[45:46]
	buffer_load_dword v18, off, s[28:31], 0 offset:684 ; 4-byte Folded Reload
	buffer_load_dword v19, off, s[28:31], 0 offset:688 ; 4-byte Folded Reload
	;; [unrolled: 1-line block ×4, first 2 shown]
	v_ashrrev_i32_e32 v63, 31, v62
	v_addc_co_u32_e32 v13, vcc, v13, v61, vcc
	v_lshlrev_b64 v[60:61], 3, v[62:63]
	v_mov_b32_e32 v27, s23
	v_add_co_u32_e32 v60, vcc, s22, v60
	v_addc_co_u32_e32 v61, vcc, v27, v61, vcc
	s_waitcnt vmcnt(0)
	v_add_f64 v[18:19], v[18:19], -v[45:46]
	global_load_dwordx2 v[45:46], v[60:61], off
	s_nop 0
	buffer_load_dword v60, off, s[28:31], 0 offset:340 ; 4-byte Folded Reload
	buffer_load_dword v61, off, s[28:31], 0 offset:344 ; 4-byte Folded Reload
	;; [unrolled: 1-line block ×4, first 2 shown]
	v_mul_f64 v[18:19], v[18:19], s[0:1]
	v_fma_f64 v[8:9], v[8:9], s[2:3], -v[18:19]
	s_waitcnt vmcnt(2)
	v_mul_f64 v[45:46], v[60:61], v[45:46]
	s_waitcnt vmcnt(0)
	v_mul_f64 v[18:19], v[20:21], v[45:46]
	v_mul_f64 v[8:9], v[8:9], v[18:19]
	;; [unrolled: 1-line block ×3, first 2 shown]
	v_fma_f64 v[16:17], v[16:17], s[2:3], -v[18:19]
	buffer_load_dword v18, off, s[28:31], 0 offset:352 ; 4-byte Folded Reload
	buffer_load_dword v19, off, s[28:31], 0 offset:356 ; 4-byte Folded Reload
	s_waitcnt vmcnt(0)
	v_mul_f64 v[8:9], v[18:19], v[8:9]
	global_load_dwordx2 v[12:13], v[12:13], off
	s_nop 0
	buffer_load_dword v18, off, s[28:31], 0 offset:24 ; 4-byte Folded Reload
	buffer_load_dword v19, off, s[28:31], 0 offset:28 ; 4-byte Folded Reload
	v_mul_f64 v[8:9], v[32:33], v[8:9]
	s_waitcnt vmcnt(0)
	v_mul_f64 v[12:13], v[18:19], v[12:13]
	v_mov_b32_e32 v18, s23
	v_mul_f64 v[12:13], v[20:21], v[12:13]
	v_fma_f64 v[8:9], v[16:17], v[12:13], v[8:9]
	buffer_store_dword v8, off, s[28:31], 0 offset:340 ; 4-byte Folded Spill
	s_nop 0
	buffer_store_dword v9, off, s[28:31], 0 offset:344 ; 4-byte Folded Spill
	buffer_load_dword v12, off, s[28:31], 0 offset:324 ; 4-byte Folded Reload
	buffer_load_dword v13, off, s[28:31], 0 offset:328 ; 4-byte Folded Reload
	v_mov_b32_e32 v9, s23
	s_waitcnt vmcnt(1)
	v_add_co_u32_e32 v8, vcc, s22, v12
	buffer_load_dword v12, off, s[28:31], 0 offset:320 ; 4-byte Folded Reload
	s_waitcnt vmcnt(1)
	v_addc_co_u32_e32 v9, vcc, v9, v13, vcc
	s_waitcnt vmcnt(0)
	v_add_u32_e32 v16, s7, v12
	v_ashrrev_i32_e32 v17, 31, v16
	v_lshlrev_b64 v[12:13], 3, v[16:17]
	v_add_co_u32_e32 v12, vcc, s22, v12
	v_addc_co_u32_e32 v13, vcc, v18, v13, vcc
	buffer_load_dword v17, off, s[28:31], 0 offset:676 ; 4-byte Folded Reload
	buffer_load_dword v18, off, s[28:31], 0 offset:680 ; 4-byte Folded Reload
	;; [unrolled: 1-line block ×4, first 2 shown]
	s_waitcnt vmcnt(2)
	v_add_f64 v[17:18], v[17:18], -v[58:59]
	global_load_dwordx2 v[12:13], v[12:13], off
	s_nop 0
	buffer_load_dword v21, off, s[28:31], 0 offset:212 ; 4-byte Folded Reload
	buffer_load_dword v22, off, s[28:31], 0 offset:216 ; 4-byte Folded Reload
	s_waitcnt vmcnt(3)
	v_add_f64 v[19:20], v[19:20], -v[51:52]
	v_mul_f64 v[19:20], v[19:20], s[0:1]
	v_fma_f64 v[4:5], v[4:5], s[2:3], -v[19:20]
	s_waitcnt vmcnt(0)
	v_mul_f64 v[12:13], v[21:22], v[12:13]
	buffer_load_dword v21, off, s[28:31], 0 offset:48 ; 4-byte Folded Reload
	buffer_load_dword v22, off, s[28:31], 0 offset:52 ; 4-byte Folded Reload
	s_waitcnt vmcnt(0)
	v_mul_f64 v[12:13], v[21:22], v[12:13]
	global_load_dwordx2 v[8:9], v[8:9], off
	v_mul_f64 v[4:5], v[4:5], v[12:13]
	v_mul_f64 v[12:13], v[17:18], s[0:1]
	v_fma_f64 v[12:13], v[14:15], s[2:3], -v[12:13]
	buffer_load_dword v14, off, s[28:31], 0 offset:16 ; 4-byte Folded Reload
	buffer_load_dword v15, off, s[28:31], 0 offset:20 ; 4-byte Folded Reload
	;; [unrolled: 1-line block ×6, first 2 shown]
	s_waitcnt vmcnt(2)
	v_mul_f64 v[4:5], v[17:18], v[4:5]
	v_mul_f64 v[8:9], v[14:15], v[8:9]
	;; [unrolled: 1-line block ×4, first 2 shown]
	v_fma_f64 v[4:5], v[12:13], v[8:9], v[4:5]
	buffer_store_dword v4, off, s[28:31], 0 offset:212 ; 4-byte Folded Spill
	s_nop 0
	buffer_store_dword v5, off, s[28:31], 0 offset:216 ; 4-byte Folded Spill
	buffer_load_dword v4, off, s[28:31], 0 offset:200 ; 4-byte Folded Reload
	v_mov_b32_e32 v8, s23
	s_waitcnt vmcnt(0)
	v_add_u32_e32 v12, s7, v4
	v_ashrrev_i32_e32 v13, 31, v12
	v_lshlrev_b64 v[4:5], 3, v[12:13]
	v_add_co_u32_e32 v4, vcc, s22, v4
	v_addc_co_u32_e32 v5, vcc, v8, v5, vcc
	buffer_load_dword v8, off, s[28:31], 0 offset:660 ; 4-byte Folded Reload
	buffer_load_dword v9, off, s[28:31], 0 offset:664 ; 4-byte Folded Reload
	;; [unrolled: 1-line block ×4, first 2 shown]
	s_waitcnt vmcnt(0)
	v_add_f64 v[8:9], v[8:9], -v[13:14]
	global_load_dwordx2 v[4:5], v[4:5], off
	s_nop 0
	buffer_load_dword v13, off, s[28:31], 0 offset:204 ; 4-byte Folded Reload
	buffer_load_dword v14, off, s[28:31], 0 offset:208 ; 4-byte Folded Reload
	v_mul_f64 v[8:9], v[8:9], s[0:1]
	v_fma_f64 v[2:3], v[2:3], s[2:3], -v[8:9]
	s_waitcnt vmcnt(0)
	v_mul_f64 v[4:5], v[13:14], v[4:5]
	buffer_load_dword v13, off, s[28:31], 0 offset:72 ; 4-byte Folded Reload
	buffer_load_dword v14, off, s[28:31], 0 offset:76 ; 4-byte Folded Reload
	;; [unrolled: 1-line block ×4, first 2 shown]
	s_waitcnt vmcnt(2)
	v_mul_f64 v[4:5], v[13:14], v[4:5]
	v_mul_f64 v[2:3], v[2:3], v[4:5]
	v_mov_b32_e32 v5, s23
	s_waitcnt vmcnt(1)
	v_add_co_u32_e32 v4, vcc, s22, v8
	s_waitcnt vmcnt(0)
	v_addc_co_u32_e32 v5, vcc, v5, v9, vcc
	buffer_load_dword v8, off, s[28:31], 0 offset:628 ; 4-byte Folded Reload
	buffer_load_dword v9, off, s[28:31], 0 offset:632 ; 4-byte Folded Reload
	;; [unrolled: 1-line block ×4, first 2 shown]
	v_mul_f64 v[2:3], v[49:50], v[2:3]
	global_load_dwordx2 v[4:5], v[4:5], off
	v_mul_f64 v[2:3], v[32:33], v[2:3]
	s_waitcnt vmcnt(1)
	v_add_f64 v[8:9], v[8:9], -v[17:18]
	v_mul_f64 v[8:9], v[8:9], s[0:1]
	v_fma_f64 v[0:1], v[0:1], s[2:3], -v[8:9]
	buffer_load_dword v8, off, s[28:31], 0 offset:8 ; 4-byte Folded Reload
	buffer_load_dword v9, off, s[28:31], 0 offset:12 ; 4-byte Folded Reload
	s_waitcnt vmcnt(0)
	v_mul_f64 v[4:5], v[8:9], v[4:5]
	v_mul_f64 v[4:5], v[13:14], v[4:5]
	v_fma_f64 v[0:1], v[0:1], v[4:5], v[2:3]
	buffer_store_dword v0, off, s[28:31], 0 offset:104 ; 4-byte Folded Spill
	s_nop 0
	buffer_store_dword v1, off, s[28:31], 0 offset:108 ; 4-byte Folded Spill
	buffer_load_dword v0, off, s[28:31], 0 offset:284 ; 4-byte Folded Reload
	v_mov_b32_e32 v3, s23
	v_add_f64 v[5:6], v[43:44], -v[6:7]
	s_waitcnt vmcnt(0)
	v_add_u32_e32 v0, s7, v0
	v_ashrrev_i32_e32 v1, 31, v0
	v_lshlrev_b64 v[1:2], 3, v[0:1]
	v_add_u32_e32 v0, s6, v0
	v_add_co_u32_e32 v1, vcc, s22, v1
	v_addc_co_u32_e32 v2, vcc, v3, v2, vcc
	buffer_load_dword v3, off, s[28:31], 0 offset:620 ; 4-byte Folded Reload
	buffer_load_dword v4, off, s[28:31], 0 offset:624 ; 4-byte Folded Reload
	buffer_load_dword v8, off, s[28:31], 0 offset:708 ; 4-byte Folded Reload
	buffer_load_dword v9, off, s[28:31], 0 offset:712 ; 4-byte Folded Reload
	s_waitcnt vmcnt(0)
	v_add_f64 v[3:4], v[3:4], -v[8:9]
	global_load_dwordx2 v[1:2], v[1:2], off
	s_nop 0
	buffer_load_dword v8, off, s[28:31], 0 offset:192 ; 4-byte Folded Reload
	buffer_load_dword v9, off, s[28:31], 0 offset:196 ; 4-byte Folded Reload
	;; [unrolled: 1-line block ×4, first 2 shown]
	v_mul_f64 v[3:4], v[3:4], s[0:1]
	v_fma_f64 v[3:4], v[5:6], s[2:3], -v[3:4]
	buffer_load_dword v5, off, s[28:31], 0 offset:276 ; 4-byte Folded Reload
	buffer_load_dword v6, off, s[28:31], 0 offset:280 ; 4-byte Folded Reload
	s_waitcnt vmcnt(4)
	v_mul_f64 v[1:2], v[8:9], v[1:2]
	s_waitcnt vmcnt(2)
	v_mul_f64 v[1:2], v[13:14], v[1:2]
	v_mul_f64 v[1:2], v[3:4], v[1:2]
	v_mov_b32_e32 v4, s23
	s_waitcnt vmcnt(1)
	v_add_co_u32_e32 v3, vcc, s22, v5
	s_waitcnt vmcnt(0)
	v_addc_co_u32_e32 v4, vcc, v4, v6, vcc
	buffer_load_dword v5, off, s[28:31], 0 offset:612 ; 4-byte Folded Reload
	buffer_load_dword v6, off, s[28:31], 0 offset:616 ; 4-byte Folded Reload
	;; [unrolled: 1-line block ×4, first 2 shown]
	v_mul_f64 v[1:2], v[19:20], v[1:2]
	global_load_dwordx2 v[3:4], v[3:4], off
	v_mul_f64 v[1:2], v[32:33], v[1:2]
	s_waitcnt vmcnt(1)
	v_add_f64 v[5:6], v[5:6], -v[7:8]
	v_add_f64 v[7:8], v[38:39], -v[10:11]
	v_mov_b32_e32 v38, v33
	v_mov_b32_e32 v37, v32
	v_mul_f64 v[5:6], v[5:6], s[0:1]
	v_fma_f64 v[5:6], v[7:8], s[2:3], -v[5:6]
	buffer_load_dword v7, off, s[28:31], 0  ; 4-byte Folded Reload
	buffer_load_dword v8, off, s[28:31], 0 offset:4 ; 4-byte Folded Reload
	s_waitcnt vmcnt(0)
	v_mul_f64 v[3:4], v[7:8], v[3:4]
	v_mul_f64 v[3:4], v[13:14], v[3:4]
	v_fma_f64 v[1:2], v[5:6], v[3:4], v[1:2]
	buffer_store_dword v1, off, s[28:31], 0 offset:192 ; 4-byte Folded Spill
	s_nop 0
	buffer_store_dword v2, off, s[28:31], 0 offset:196 ; 4-byte Folded Spill
	v_add_u32_e32 v1, s6, v62
	v_ashrrev_i32_e32 v2, 31, v1
	v_lshlrev_b64 v[1:2], 3, v[1:2]
	v_mov_b32_e32 v3, s23
	v_add_co_u32_e32 v32, vcc, s22, v1
	v_add_u32_e32 v1, s6, v16
	v_addc_co_u32_e32 v33, vcc, v3, v2, vcc
	v_ashrrev_i32_e32 v2, 31, v1
	v_lshlrev_b64 v[1:2], 3, v[1:2]
	v_add_co_u32_e32 v10, vcc, s22, v1
	v_ashrrev_i32_e32 v1, 31, v0
	v_lshlrev_b64 v[0:1], 3, v[0:1]
	v_addc_co_u32_e32 v11, vcc, v3, v2, vcc
	v_mov_b32_e32 v2, s23
	v_add_co_u32_e32 v8, vcc, s22, v0
	v_addc_co_u32_e32 v9, vcc, v2, v1, vcc
	buffer_load_dword v0, off, s[28:31], 0 offset:472 ; 4-byte Folded Reload
	buffer_load_dword v1, off, s[28:31], 0 offset:476 ; 4-byte Folded Reload
	v_mov_b32_e32 v2, s17
	s_waitcnt vmcnt(1)
	v_add_u32_e32 v0, s6, v0
	s_waitcnt vmcnt(0)
	v_ashrrev_i32_e32 v1, 31, v0
	v_lshlrev_b64 v[0:1], 3, v[0:1]
	v_add_co_u32_e32 v4, vcc, s16, v0
	v_addc_co_u32_e32 v5, vcc, v2, v1, vcc
	buffer_load_dword v0, off, s[28:31], 0 offset:548 ; 4-byte Folded Reload
	buffer_load_dword v1, off, s[28:31], 0 offset:552 ; 4-byte Folded Reload
	s_waitcnt vmcnt(1)
	v_add_u32_e32 v0, s6, v0
	s_waitcnt vmcnt(0)
	v_ashrrev_i32_e32 v1, 31, v0
	v_lshlrev_b64 v[0:1], 3, v[0:1]
	v_add_co_u32_e32 v13, vcc, s16, v0
	v_addc_co_u32_e32 v14, vcc, v2, v1, vcc
	buffer_load_dword v0, off, s[28:31], 0 offset:580 ; 4-byte Folded Reload
	buffer_load_dword v1, off, s[28:31], 0 offset:584 ; 4-byte Folded Reload
	;; [unrolled: 9-line block ×7, first 2 shown]
	s_waitcnt vmcnt(1)
	v_add_u32_e32 v0, s6, v0
	s_waitcnt vmcnt(0)
	v_ashrrev_i32_e32 v1, 31, v0
	v_lshlrev_b64 v[0:1], 3, v[0:1]
	v_add_co_u32_e32 v30, vcc, s16, v0
	v_add_u32_e32 v0, s6, v53
	v_addc_co_u32_e32 v31, vcc, v2, v1, vcc
	v_ashrrev_i32_e32 v1, 31, v0
	v_lshlrev_b64 v[0:1], 3, v[0:1]
	v_add_co_u32_e32 v46, vcc, s16, v0
	v_add_u32_e32 v0, s6, v54
	v_addc_co_u32_e32 v47, vcc, v2, v1, vcc
	;; [unrolled: 5-line block ×9, first 2 shown]
	v_ashrrev_i32_e32 v1, 31, v0
	v_lshlrev_b64 v[0:1], 3, v[0:1]
	v_mov_b32_e32 v2, s23
	v_add_co_u32_e32 v28, vcc, s22, v0
	v_addc_co_u32_e32 v29, vcc, v2, v1, vcc
	buffer_load_dword v2, off, s[28:31], 0 offset:296 ; 4-byte Folded Reload
	buffer_load_dword v3, off, s[28:31], 0 offset:300 ; 4-byte Folded Reload
	v_mov_b32_e32 v1, s27
	s_waitcnt vmcnt(1)
	v_add_co_u32_e32 v0, vcc, s26, v2
	s_waitcnt vmcnt(0)
	v_addc_co_u32_e32 v1, vcc, v1, v3, vcc
	buffer_load_dword v2, off, s[28:31], 0 offset:448 ; 4-byte Folded Reload
	buffer_load_dword v3, off, s[28:31], 0 offset:452 ; 4-byte Folded Reload
	buffer_load_dword v6, off, s[28:31], 0 offset:88 ; 4-byte Folded Reload
	buffer_load_dword v7, off, s[28:31], 0 offset:92 ; 4-byte Folded Reload
	s_waitcnt vmcnt(0)
	v_mul_f64 v[2:3], v[6:7], v[2:3]
	buffer_load_dword v6, off, s[28:31], 0 offset:400 ; 4-byte Folded Reload
	buffer_load_dword v7, off, s[28:31], 0 offset:404 ; 4-byte Folded Reload
	;; [unrolled: 1-line block ×4, first 2 shown]
	s_waitcnt vmcnt(0)
	v_fma_f64 v[6:7], v[37:38], v[25:26], v[6:7]
	buffer_store_dword v6, off, s[28:31], 0 offset:88 ; 4-byte Folded Spill
	s_nop 0
	buffer_store_dword v7, off, s[28:31], 0 offset:92 ; 4-byte Folded Spill
	buffer_load_dword v25, off, s[28:31], 0 offset:636 ; 4-byte Folded Reload
	buffer_load_dword v26, off, s[28:31], 0 offset:640 ; 4-byte Folded Reload
	v_mov_b32_e32 v6, v37
	v_mov_b32_e32 v7, v38
	s_waitcnt vmcnt(0)
	v_mul_f64 v[2:3], v[2:3], v[25:26]
	buffer_load_dword v25, off, s[28:31], 0 offset:80 ; 4-byte Folded Reload
	buffer_load_dword v26, off, s[28:31], 0 offset:84 ; 4-byte Folded Reload
	;; [unrolled: 1-line block ×4, first 2 shown]
	s_waitcnt vmcnt(0)
	v_mul_f64 v[25:26], v[25:26], v[34:35]
	global_load_dwordx2 v[54:55], v[4:5], off
	global_load_dwordx2 v[36:37], v[13:14], off
	global_load_dwordx2 v[34:35], v[15:16], off
	s_nop 0
	global_load_dwordx2 v[14:15], v[17:18], off
	s_waitcnt vmcnt(2)
	v_add_f64 v[4:5], v[54:55], -v[36:37]
	s_waitcnt vmcnt(0)
	v_add_f64 v[12:13], v[34:35], -v[14:15]
	v_mul_f64 v[4:5], v[4:5], s[0:1]
	v_fma_f64 v[4:5], v[12:13], s[2:3], -v[4:5]
	buffer_load_dword v12, off, s[28:31], 0 offset:644 ; 4-byte Folded Reload
	buffer_load_dword v13, off, s[28:31], 0 offset:648 ; 4-byte Folded Reload
	v_mul_f64 v[2:3], v[2:3], v[4:5]
	s_waitcnt vmcnt(0)
	v_mul_f64 v[12:13], v[25:26], v[12:13]
	buffer_load_dword v16, off, s[28:31], 0 offset:40 ; 4-byte Folded Reload
	buffer_load_dword v17, off, s[28:31], 0 offset:44 ; 4-byte Folded Reload
	;; [unrolled: 1-line block ×4, first 2 shown]
	global_load_dwordx2 v[56:57], v[19:20], off
	global_load_dwordx2 v[42:43], v[21:22], off
	global_load_dwordx2 v[38:39], v[23:24], off
	s_nop 0
	global_load_dwordx2 v[20:21], v[30:31], off
	s_waitcnt vmcnt(3)
	v_add_f64 v[54:55], v[54:55], -v[56:57]
	v_mul_f64 v[25:26], v[16:17], v[25:26]
	s_waitcnt vmcnt(2)
	v_add_f64 v[16:17], v[56:57], -v[42:43]
	s_waitcnt vmcnt(0)
	v_add_f64 v[18:19], v[38:39], -v[20:21]
	v_add_f64 v[14:15], v[14:15], -v[20:21]
	v_mul_f64 v[16:17], v[16:17], s[0:1]
	v_mul_f64 v[14:15], v[14:15], s[0:1]
	v_fma_f64 v[16:17], v[18:19], s[2:3], -v[16:17]
	buffer_load_dword v18, off, s[28:31], 0 offset:652 ; 4-byte Folded Reload
	buffer_load_dword v19, off, s[28:31], 0 offset:656 ; 4-byte Folded Reload
	v_mul_f64 v[4:5], v[12:13], v[16:17]
	s_waitcnt vmcnt(0)
	v_mul_f64 v[18:19], v[25:26], v[18:19]
	buffer_load_dword v22, off, s[28:31], 0 offset:32 ; 4-byte Folded Reload
	buffer_load_dword v23, off, s[28:31], 0 offset:36 ; 4-byte Folded Reload
	;; [unrolled: 1-line block ×4, first 2 shown]
	global_load_dwordx2 v[58:59], v[46:47], off
	s_nop 0
	global_load_dwordx2 v[48:49], v[48:49], off
	s_nop 0
	global_load_dwordx2 v[46:47], v[60:61], off
	global_load_dwordx2 v[30:31], v[62:63], off
	s_waitcnt vmcnt(4)
	v_mul_f64 v[22:23], v[22:23], v[24:25]
	s_waitcnt vmcnt(2)
	v_add_f64 v[24:25], v[58:59], -v[48:49]
	s_waitcnt vmcnt(0)
	v_add_f64 v[26:27], v[46:47], -v[30:31]
	v_mul_f64 v[24:25], v[24:25], s[0:1]
	v_fma_f64 v[24:25], v[26:27], s[2:3], -v[24:25]
	buffer_load_dword v26, off, s[28:31], 0 offset:96 ; 4-byte Folded Reload
	buffer_load_dword v27, off, s[28:31], 0 offset:100 ; 4-byte Folded Reload
	v_mul_f64 v[12:13], v[18:19], v[24:25]
	s_waitcnt vmcnt(0)
	v_mul_f64 v[26:27], v[22:23], v[26:27]
	global_load_dwordx2 v[22:23], v[32:33], off
	s_nop 0
	buffer_load_dword v32, off, s[28:31], 0 offset:24 ; 4-byte Folded Reload
	buffer_load_dword v33, off, s[28:31], 0 offset:28 ; 4-byte Folded Reload
	global_load_dwordx2 v[56:57], v[40:41], off
	global_load_dwordx2 v[60:61], v[44:45], off
	;; [unrolled: 1-line block ×3, first 2 shown]
	s_nop 0
	global_load_dwordx2 v[44:45], v[52:53], off
	s_waitcnt vmcnt(4)
	v_mul_f64 v[22:23], v[32:33], v[22:23]
	s_waitcnt vmcnt(2)
	v_add_f64 v[32:33], v[56:57], -v[60:61]
	s_waitcnt vmcnt(0)
	v_add_f64 v[40:41], v[62:63], -v[44:45]
	v_mul_f64 v[32:33], v[32:33], s[0:1]
	v_fma_f64 v[40:41], v[40:41], s[2:3], -v[32:33]
	buffer_load_dword v32, off, s[28:31], 0 offset:64 ; 4-byte Folded Reload
	buffer_load_dword v33, off, s[28:31], 0 offset:68 ; 4-byte Folded Reload
	v_mul_f64 v[16:17], v[26:27], v[40:41]
	global_load_dwordx2 v[10:11], v[10:11], off
	s_nop 0
	buffer_load_dword v50, off, s[28:31], 0 offset:16 ; 4-byte Folded Reload
	buffer_load_dword v51, off, s[28:31], 0 offset:20 ; 4-byte Folded Reload
	s_waitcnt vmcnt(3)
	v_mul_f64 v[32:33], v[32:33], v[22:23]
	v_add_f64 v[22:23], v[58:59], -v[56:57]
	s_waitcnt vmcnt(0)
	v_mul_f64 v[50:51], v[50:51], v[10:11]
	v_mul_f64 v[10:11], v[54:55], s[0:1]
	v_fma_f64 v[10:11], v[22:23], s[2:3], -v[10:11]
	buffer_load_dword v22, off, s[28:31], 0 offset:48 ; 4-byte Folded Reload
	buffer_load_dword v23, off, s[28:31], 0 offset:52 ; 4-byte Folded Reload
	v_mul_f64 v[10:11], v[10:11], v[32:33]
	global_load_dwordx2 v[28:29], v[28:29], off
	v_mov_b32_e32 v33, v7
	v_mov_b32_e32 v32, v6
	s_waitcnt vmcnt(1)
	v_mul_f64 v[50:51], v[22:23], v[50:51]
	v_add_f64 v[22:23], v[36:37], -v[42:43]
	buffer_load_dword v36, off, s[28:31], 0 offset:8 ; 4-byte Folded Reload
	buffer_load_dword v37, off, s[28:31], 0 offset:12 ; 4-byte Folded Reload
	v_add_f64 v[42:43], v[48:49], -v[60:61]
	v_mul_f64 v[22:23], v[22:23], s[0:1]
	s_waitcnt vmcnt(0)
	v_mul_f64 v[48:49], v[36:37], v[28:29]
	v_fma_f64 v[28:29], v[42:43], s[2:3], -v[22:23]
	buffer_load_dword v22, off, s[28:31], 0 offset:72 ; 4-byte Folded Reload
	buffer_load_dword v23, off, s[28:31], 0 offset:76 ; 4-byte Folded Reload
	v_add_f64 v[36:37], v[34:35], -v[38:39]
	global_load_dwordx2 v[8:9], v[8:9], off
	v_add_f64 v[38:39], v[46:47], -v[62:63]
	v_mul_f64 v[20:21], v[36:37], s[0:1]
	v_fma_f64 v[20:21], v[38:39], s[2:3], -v[20:21]
	s_waitcnt vmcnt(1)
	v_mul_f64 v[34:35], v[22:23], v[48:49]
	buffer_load_dword v22, off, s[28:31], 0 ; 4-byte Folded Reload
	buffer_load_dword v23, off, s[28:31], 0 offset:4 ; 4-byte Folded Reload
	v_mul_f64 v[20:21], v[20:21], v[34:35]
	s_waitcnt vmcnt(0)
	v_mul_f64 v[8:9], v[22:23], v[8:9]
	buffer_load_dword v22, off, s[28:31], 0 offset:56 ; 4-byte Folded Reload
	buffer_load_dword v23, off, s[28:31], 0 offset:60 ; 4-byte Folded Reload
	buffer_load_dword v18, off, s[28:31], 0 offset:220 ; 4-byte Folded Reload
	buffer_load_dword v19, off, s[28:31], 0 offset:224 ; 4-byte Folded Reload
	s_waitcnt vmcnt(2)
	v_mul_f64 v[8:9], v[22:23], v[8:9]
	v_add_f64 v[22:23], v[30:31], -v[44:45]
	s_waitcnt vmcnt(0)
	v_mul_f64 v[18:19], v[18:19], s[0:1]
	v_fma_f64 v[14:15], v[22:23], s[2:3], -v[14:15]
	buffer_load_dword v22, off, s[28:31], 0 offset:244 ; 4-byte Folded Reload
	buffer_load_dword v23, off, s[28:31], 0 offset:248 ; 4-byte Folded Reload
	;; [unrolled: 1-line block ×4, first 2 shown]
	v_mul_f64 v[8:9], v[14:15], v[8:9]
	s_waitcnt vmcnt(2)
	v_fma_f64 v[18:19], v[22:23], s[2:3], -v[18:19]
	s_waitcnt vmcnt(0)
	v_fma_f64 v[2:3], v[6:7], v[2:3], v[26:27]
	buffer_load_dword v26, off, s[28:31], 0 offset:432 ; 4-byte Folded Reload
	buffer_load_dword v27, off, s[28:31], 0 offset:436 ; 4-byte Folded Reload
	v_mul_f64 v[22:23], v[28:29], v[50:51]
	s_waitcnt vmcnt(0)
	v_fma_f64 v[4:5], v[6:7], v[4:5], v[26:27]
	buffer_load_dword v26, off, s[28:31], 0 offset:464 ; 4-byte Folded Reload
	buffer_load_dword v27, off, s[28:31], 0 offset:468 ; 4-byte Folded Reload
	v_add_f64 v[2:3], v[2:3], -v[4:5]
	v_mul_f64 v[2:3], v[2:3], s[0:1]
	s_waitcnt vmcnt(0)
	v_fma_f64 v[12:13], v[6:7], v[12:13], v[26:27]
	buffer_load_dword v26, off, s[28:31], 0 offset:360 ; 4-byte Folded Reload
	buffer_load_dword v27, off, s[28:31], 0 offset:364 ; 4-byte Folded Reload
	s_waitcnt vmcnt(0)
	v_fma_f64 v[16:17], v[6:7], v[16:17], v[26:27]
	buffer_load_dword v6, off, s[28:31], 0 offset:88 ; 4-byte Folded Reload
	buffer_load_dword v7, off, s[28:31], 0 offset:92 ; 4-byte Folded Reload
	v_add_f64 v[12:13], v[12:13], -v[16:17]
	v_fma_f64 v[2:3], v[12:13], s[2:3], -v[2:3]
	s_waitcnt vmcnt(0)
	v_add_f64 v[6:7], v[6:7], v[18:19]
	buffer_load_dword v18, off, s[28:31], 0 offset:236 ; 4-byte Folded Reload
	buffer_load_dword v19, off, s[28:31], 0 offset:240 ; 4-byte Folded Reload
	;; [unrolled: 1-line block ×4, first 2 shown]
	s_waitcnt vmcnt(2)
	v_mul_f64 v[18:19], v[18:19], s[0:1]
	s_waitcnt vmcnt(0)
	v_fma_f64 v[18:19], v[24:25], s[2:3], -v[18:19]
	buffer_load_dword v24, off, s[28:31], 0 offset:260 ; 4-byte Folded Reload
	buffer_load_dword v25, off, s[28:31], 0 offset:264 ; 4-byte Folded Reload
	;; [unrolled: 1-line block ×4, first 2 shown]
	v_add_f64 v[6:7], v[18:19], v[6:7]
	s_waitcnt vmcnt(0)
	v_add_f64 v[24:25], v[24:25], -v[26:27]
	buffer_load_dword v26, off, s[28:31], 0 offset:144 ; 4-byte Folded Reload
	buffer_load_dword v27, off, s[28:31], 0 offset:148 ; 4-byte Folded Reload
	;; [unrolled: 1-line block ×4, first 2 shown]
	v_mul_f64 v[24:25], v[24:25], s[0:1]
	s_waitcnt vmcnt(0)
	v_add_f64 v[26:27], v[26:27], -v[28:29]
	buffer_load_dword v28, off, s[28:31], 0 offset:288 ; 4-byte Folded Reload
	buffer_load_dword v29, off, s[28:31], 0 offset:292 ; 4-byte Folded Reload
	;; [unrolled: 1-line block ×4, first 2 shown]
	v_fma_f64 v[18:19], v[26:27], s[2:3], -v[24:25]
	v_add_f64 v[6:7], v[6:7], v[18:19]
	s_waitcnt vmcnt(0)
	v_add_f64 v[28:29], v[28:29], -v[30:31]
	global_load_dwordx2 v[30:31], v[0:1], off
	buffer_load_dword v24, off, s[28:31], 0 offset:120 ; 4-byte Folded Reload
	buffer_load_dword v25, off, s[28:31], 0 offset:124 ; 4-byte Folded Reload
	buffer_load_dword v26, off, s[28:31], 0 offset:228 ; 4-byte Folded Reload
	buffer_load_dword v27, off, s[28:31], 0 offset:232 ; 4-byte Folded Reload
	s_waitcnt vmcnt(0)
	v_add_f64 v[24:25], v[24:25], -v[26:27]
	v_mul_f64 v[26:27], v[28:29], s[0:1]
	buffer_load_dword v28, off, s[28:31], 0 offset:340 ; 4-byte Folded Reload
	buffer_load_dword v29, off, s[28:31], 0 offset:344 ; 4-byte Folded Reload
	;; [unrolled: 1-line block ×6, first 2 shown]
	v_fma_f64 v[18:19], v[24:25], s[2:3], -v[26:27]
	v_add_f64 v[6:7], v[6:7], v[18:19]
	v_add_f64 v[2:3], v[6:7], v[2:3]
	s_waitcnt vmcnt(4)
	v_fma_f64 v[10:11], v[32:33], v[10:11], v[28:29]
	s_waitcnt vmcnt(2)
	v_fma_f64 v[4:5], v[32:33], v[22:23], v[4:5]
	;; [unrolled: 2-line block ×3, first 2 shown]
	v_add_f64 v[4:5], v[10:11], -v[4:5]
	buffer_load_dword v10, off, s[28:31], 0 offset:192 ; 4-byte Folded Reload
	buffer_load_dword v11, off, s[28:31], 0 offset:196 ; 4-byte Folded Reload
	v_mul_f64 v[4:5], v[4:5], s[0:1]
	s_waitcnt vmcnt(0)
	v_fma_f64 v[8:9], v[32:33], v[8:9], v[10:11]
	v_add_f64 v[8:9], v[14:15], -v[8:9]
	v_fma_f64 v[4:5], v[8:9], s[2:3], -v[4:5]
	v_add_f64 v[2:3], v[2:3], v[4:5]
	buffer_load_dword v4, off, s[28:31], 0 offset:168 ; 4-byte Folded Reload
	buffer_load_dword v5, off, s[28:31], 0 offset:172 ; 4-byte Folded Reload
	;; [unrolled: 1-line block ×6, first 2 shown]
	v_mul_f64 v[2:3], s[14:15], v[2:3]
	s_waitcnt vmcnt(0)
	v_div_fixup_f64 v[4:5], v[8:9], v[6:7], v[4:5]
	v_mul_f64 v[2:3], v[4:5], v[2:3]
	v_fma_f64 v[2:3], s[12:13], v[30:31], v[2:3]
	global_store_dwordx2 v[0:1], v[2:3], off
.LBB2_2:
	s_endpgm
	.section	.rodata,"a",@progbits
	.p2align	6, 0x0
	.amdhsa_kernel _Z7kernel3iiiiiiiiiiiiddPKdS0_S0_S0_S0_PdS0_S0_S0_S0_S0_S0_S0_
		.amdhsa_group_segment_fixed_size 0
		.amdhsa_private_segment_fixed_size 1056
		.amdhsa_kernarg_size 424
		.amdhsa_user_sgpr_count 6
		.amdhsa_user_sgpr_private_segment_buffer 1
		.amdhsa_user_sgpr_dispatch_ptr 0
		.amdhsa_user_sgpr_queue_ptr 0
		.amdhsa_user_sgpr_kernarg_segment_ptr 1
		.amdhsa_user_sgpr_dispatch_id 0
		.amdhsa_user_sgpr_flat_scratch_init 0
		.amdhsa_user_sgpr_private_segment_size 0
		.amdhsa_uses_dynamic_stack 0
		.amdhsa_system_sgpr_private_segment_wavefront_offset 1
		.amdhsa_system_sgpr_workgroup_id_x 1
		.amdhsa_system_sgpr_workgroup_id_y 1
		.amdhsa_system_sgpr_workgroup_id_z 1
		.amdhsa_system_sgpr_workgroup_info 0
		.amdhsa_system_vgpr_workitem_id 2
		.amdhsa_next_free_vgpr 64
		.amdhsa_next_free_sgpr 32
		.amdhsa_reserve_vcc 1
		.amdhsa_reserve_flat_scratch 0
		.amdhsa_float_round_mode_32 0
		.amdhsa_float_round_mode_16_64 0
		.amdhsa_float_denorm_mode_32 3
		.amdhsa_float_denorm_mode_16_64 3
		.amdhsa_dx10_clamp 1
		.amdhsa_ieee_mode 1
		.amdhsa_fp16_overflow 0
		.amdhsa_exception_fp_ieee_invalid_op 0
		.amdhsa_exception_fp_denorm_src 0
		.amdhsa_exception_fp_ieee_div_zero 0
		.amdhsa_exception_fp_ieee_overflow 0
		.amdhsa_exception_fp_ieee_underflow 0
		.amdhsa_exception_fp_ieee_inexact 0
		.amdhsa_exception_int_div_zero 0
	.end_amdhsa_kernel
	.text
.Lfunc_end2:
	.size	_Z7kernel3iiiiiiiiiiiiddPKdS0_S0_S0_S0_PdS0_S0_S0_S0_S0_S0_S0_, .Lfunc_end2-_Z7kernel3iiiiiiiiiiiiddPKdS0_S0_S0_S0_PdS0_S0_S0_S0_S0_S0_S0_
                                        ; -- End function
	.set _Z7kernel3iiiiiiiiiiiiddPKdS0_S0_S0_S0_PdS0_S0_S0_S0_S0_S0_S0_.num_vgpr, 64
	.set _Z7kernel3iiiiiiiiiiiiddPKdS0_S0_S0_S0_PdS0_S0_S0_S0_S0_S0_S0_.num_agpr, 0
	.set _Z7kernel3iiiiiiiiiiiiddPKdS0_S0_S0_S0_PdS0_S0_S0_S0_S0_S0_S0_.numbered_sgpr, 32
	.set _Z7kernel3iiiiiiiiiiiiddPKdS0_S0_S0_S0_PdS0_S0_S0_S0_S0_S0_S0_.num_named_barrier, 0
	.set _Z7kernel3iiiiiiiiiiiiddPKdS0_S0_S0_S0_PdS0_S0_S0_S0_S0_S0_S0_.private_seg_size, 1056
	.set _Z7kernel3iiiiiiiiiiiiddPKdS0_S0_S0_S0_PdS0_S0_S0_S0_S0_S0_S0_.uses_vcc, 1
	.set _Z7kernel3iiiiiiiiiiiiddPKdS0_S0_S0_S0_PdS0_S0_S0_S0_S0_S0_S0_.uses_flat_scratch, 0
	.set _Z7kernel3iiiiiiiiiiiiddPKdS0_S0_S0_S0_PdS0_S0_S0_S0_S0_S0_S0_.has_dyn_sized_stack, 0
	.set _Z7kernel3iiiiiiiiiiiiddPKdS0_S0_S0_S0_PdS0_S0_S0_S0_S0_S0_S0_.has_recursion, 0
	.set _Z7kernel3iiiiiiiiiiiiddPKdS0_S0_S0_S0_PdS0_S0_S0_S0_S0_S0_S0_.has_indirect_call, 0
	.section	.AMDGPU.csdata,"",@progbits
; Kernel info:
; codeLenInByte = 19268
; TotalNumSgprs: 36
; NumVgprs: 64
; ScratchSize: 1056
; MemoryBound: 0
; FloatMode: 240
; IeeeMode: 1
; LDSByteSize: 0 bytes/workgroup (compile time only)
; SGPRBlocks: 4
; VGPRBlocks: 15
; NumSGPRsForWavesPerEU: 36
; NumVGPRsForWavesPerEU: 64
; Occupancy: 4
; WaveLimiterHint : 0
; COMPUTE_PGM_RSRC2:SCRATCH_EN: 1
; COMPUTE_PGM_RSRC2:USER_SGPR: 6
; COMPUTE_PGM_RSRC2:TRAP_HANDLER: 0
; COMPUTE_PGM_RSRC2:TGID_X_EN: 1
; COMPUTE_PGM_RSRC2:TGID_Y_EN: 1
; COMPUTE_PGM_RSRC2:TGID_Z_EN: 1
; COMPUTE_PGM_RSRC2:TIDIG_COMP_CNT: 2
	.text
	.protected	_Z7kernel4iiiiiiiiiiiiddPKdS0_S0_S0_S0_PdS0_S0_S0_S0_S0_S0_S0_ ; -- Begin function _Z7kernel4iiiiiiiiiiiiddPKdS0_S0_S0_S0_PdS0_S0_S0_S0_S0_S0_S0_
	.globl	_Z7kernel4iiiiiiiiiiiiddPKdS0_S0_S0_S0_PdS0_S0_S0_S0_S0_S0_S0_
	.p2align	8
	.type	_Z7kernel4iiiiiiiiiiiiddPKdS0_S0_S0_S0_PdS0_S0_S0_S0_S0_S0_S0_,@function
_Z7kernel4iiiiiiiiiiiiddPKdS0_S0_S0_S0_PdS0_S0_S0_S0_S0_S0_S0_: ; @_Z7kernel4iiiiiiiiiiiiddPKdS0_S0_S0_S0_PdS0_S0_S0_S0_S0_S0_S0_
; %bb.0:
	s_mov_b64 s[38:39], s[2:3]
	s_mov_b64 s[36:37], s[0:1]
	s_load_dwordx2 s[0:1], s[4:5], 0xb4
	s_load_dwordx8 s[12:19], s[4:5], 0x0
	s_add_u32 s36, s36, s9
	s_addc_u32 s37, s37, 0
	s_waitcnt lgkmcnt(0)
	s_lshr_b32 s2, s0, 16
	s_and_b32 s0, s0, 0xffff
	s_mul_i32 s0, s6, s0
	s_add_i32 s0, s0, s12
	v_add_u32_e32 v19, s0, v0
	s_mul_i32 s0, s7, s2
	s_and_b32 s1, s1, 0xffff
	s_add_i32 s0, s0, s14
	v_add_u32_e32 v18, s0, v1
	s_mul_i32 s0, s8, s1
	s_add_i32 s0, s0, s16
	v_add_u32_e32 v8, s0, v2
	v_cmp_gt_i32_e32 vcc, s13, v19
	v_cmp_gt_i32_e64 s[0:1], s15, v18
	s_and_b64 s[0:1], vcc, s[0:1]
	v_cmp_gt_i32_e32 vcc, s17, v8
	s_and_b64 s[0:1], s[0:1], vcc
	s_and_saveexec_b64 s[2:3], s[0:1]
	s_cbranch_execz .LBB3_2
; %bb.1:
	s_load_dwordx4 s[0:3], s[4:5], 0x98
	s_load_dwordx4 s[24:27], s[4:5], 0x60
	s_load_dwordx8 s[8:15], s[4:5], 0x20
	v_subrev_u32_e32 v0, s18, v19
	v_ashrrev_i32_e32 v1, 31, v0
	v_lshlrev_b64 v[0:1], 3, v[0:1]
	s_sub_i32 s28, s19, s18
	s_waitcnt lgkmcnt(0)
	v_add_co_u32_e32 v4, vcc, s0, v0
	v_mov_b32_e32 v0, s1
	v_addc_co_u32_e32 v5, vcc, v0, v1, vcc
	v_subrev_u32_e32 v0, s8, v18
	s_sub_i32 s1, s9, s8
	v_ashrrev_i32_e32 v1, 31, v0
	s_not_b32 s0, s28
	s_add_i32 s28, s28, 1
	s_add_i32 s7, s1, 1
	v_lshlrev_b64 v[0:1], 3, v[0:1]
	s_mul_i32 s7, s7, s28
	s_mul_i32 s1, s7, s10
	v_mul_lo_u32 v9, v18, s28
	v_add_co_u32_e32 v6, vcc, s2, v0
	v_mov_b32_e32 v0, s3
	s_mul_i32 s0, s8, s0
	s_add_i32 s1, s18, s1
	v_mul_lo_u32 v10, v8, s7
	v_addc_co_u32_e32 v7, vcc, v0, v1, vcc
	s_sub_i32 s6, s0, s1
	global_load_dwordx4 v[40:43], v[4:5], off
	global_load_dwordx4 v[52:55], v[6:7], off
	v_add_u32_e32 v34, s6, v19
	v_add_u32_e32 v56, v9, v34
	;; [unrolled: 1-line block ×3, first 2 shown]
	v_ashrrev_i32_e32 v1, 31, v0
	v_lshlrev_b64 v[2:3], 3, v[0:1]
	v_mov_b32_e32 v1, s25
	v_add_co_u32_e32 v0, vcc, s24, v2
	v_addc_co_u32_e32 v1, vcc, v1, v3, vcc
	global_load_dwordx2 v[11:12], v[0:1], off
	s_load_dwordx8 s[16:23], s[4:5], 0x40
	v_add_u32_e32 v17, -2, v19
	v_add3_u32 v35, v10, v9, s6
	v_add_u32_e32 v30, v35, v17
	v_ashrrev_i32_e32 v31, 31, v30
	s_waitcnt lgkmcnt(0)
	v_mov_b32_e32 v38, s19
	v_add_u32_e32 v39, -1, v19
	s_sub_i32 s4, s11, s10
	s_add_i32 s4, s4, 1
	s_mul_i32 s4, s4, s7
	s_sub_i32 s6, s6, s4
	v_add_u32_e32 v44, 1, v19
	s_mul_i32 s5, s4, 3
	s_waitcnt vmcnt(2)
	v_div_scale_f64 v[15:16], s[0:1], v[40:41], v[40:41], 1.0
	s_waitcnt vmcnt(1)
	v_mul_f64 v[13:14], v[40:41], v[52:53]
	v_div_scale_f64 v[32:33], s[2:3], 1.0, v[52:53], 1.0
	v_mov_b32_e32 v29, v14
	v_mov_b32_e32 v28, v13
	s_waitcnt vmcnt(0)
	v_mov_b32_e32 v27, v12
	v_mov_b32_e32 v26, v11
	buffer_store_dword v28, off, s[36:39], 0 offset:128 ; 4-byte Folded Spill
	s_nop 0
	buffer_store_dword v29, off, s[36:39], 0 offset:132 ; 4-byte Folded Spill
	buffer_store_dword v26, off, s[36:39], 0 offset:120 ; 4-byte Folded Spill
	s_nop 0
	buffer_store_dword v27, off, s[36:39], 0 offset:124 ; 4-byte Folded Spill
	v_div_scale_f64 v[0:1], s[0:1], v[11:12], v[11:12], v[13:14]
	v_div_scale_f64 v[11:12], s[0:1], v[52:53], v[52:53], 1.0
	v_rcp_f64_e32 v[13:14], v[0:1]
	v_rcp_f64_e32 v[20:21], v[11:12]
	v_fma_f64 v[22:23], -v[0:1], v[13:14], 1.0
	v_fma_f64 v[24:25], -v[11:12], v[20:21], 1.0
	v_fma_f64 v[13:14], v[13:14], v[22:23], v[13:14]
	v_rcp_f64_e32 v[22:23], v[15:16]
	v_fma_f64 v[20:21], v[20:21], v[24:25], v[20:21]
	v_lshlrev_b64 v[24:25], 3, v[30:31]
	v_add_co_u32_e64 v30, s[0:1], s18, v24
	v_addc_co_u32_e64 v31, s[0:1], v38, v25, s[0:1]
	v_fma_f64 v[36:37], -v[11:12], v[20:21], 1.0
	v_fma_f64 v[20:21], v[20:21], v[36:37], v[20:21]
	v_add_u32_e32 v36, s6, v9
	v_add_u32_e32 v17, v36, v17
	v_div_scale_f64 v[26:27], vcc, v[28:29], v[26:27], v[28:29]
	v_fma_f64 v[28:29], -v[0:1], v[13:14], 1.0
	v_fma_f64 v[13:14], v[13:14], v[28:29], v[13:14]
	v_fma_f64 v[28:29], -v[15:16], v[22:23], 1.0
	v_mul_f64 v[24:25], v[26:27], v[13:14]
	v_fma_f64 v[22:23], v[22:23], v[28:29], v[22:23]
	v_add_u32_e32 v28, v35, v39
	v_ashrrev_i32_e32 v29, 31, v28
	v_lshlrev_b64 v[28:29], 3, v[28:29]
	v_add_co_u32_e64 v28, s[0:1], s18, v28
	v_fma_f64 v[0:1], -v[0:1], v[24:25], v[26:27]
	v_mul_f64 v[26:27], v[32:33], v[20:21]
	v_addc_co_u32_e64 v29, s[0:1], v38, v29, s[0:1]
	v_div_scale_f64 v[37:38], s[0:1], 1.0, v[40:41], 1.0
	v_div_fmas_f64 v[0:1], v[0:1], v[13:14], v[24:25]
	v_fma_f64 v[11:12], -v[11:12], v[26:27], v[32:33]
	s_mov_b64 vcc, s[2:3]
	buffer_store_dword v0, off, s[36:39], 0 offset:136 ; 4-byte Folded Spill
	s_nop 0
	buffer_store_dword v1, off, s[36:39], 0 offset:140 ; 4-byte Folded Spill
	v_div_fmas_f64 v[11:12], v[11:12], v[20:21], v[26:27]
	v_fma_f64 v[0:1], -v[15:16], v[22:23], 1.0
	buffer_store_dword v17, off, s[36:39], 0 offset:456 ; 4-byte Folded Spill
	buffer_store_dword v11, off, s[36:39], 0 offset:432 ; 4-byte Folded Spill
	s_nop 0
	buffer_store_dword v12, off, s[36:39], 0 offset:436 ; 4-byte Folded Spill
	v_fma_f64 v[0:1], v[22:23], v[0:1], v[22:23]
	v_add_u32_e32 v13, v35, v44
	v_ashrrev_i32_e32 v14, 31, v13
	v_lshlrev_b64 v[13:14], 3, v[13:14]
	v_mov_b32_e32 v32, s19
	v_add_co_u32_e32 v20, vcc, s18, v13
	v_addc_co_u32_e32 v21, vcc, v32, v14, vcc
	v_mul_f64 v[11:12], v[37:38], v[0:1]
	v_add_u32_e32 v14, v17, v10
	v_add_u32_e32 v13, s4, v14
	v_mov_b32_e32 v26, v14
	v_ashrrev_i32_e32 v14, 31, v13
	v_lshlrev_b64 v[13:14], 3, v[13:14]
	v_mov_b32_e32 v24, s23
	v_add_co_u32_e32 v22, vcc, s22, v13
	v_fma_f64 v[15:16], -v[15:16], v[11:12], v[37:38]
	v_addc_co_u32_e32 v23, vcc, v24, v14, vcc
	s_mov_b64 vcc, s[0:1]
	v_add_u32_e32 v17, v36, v44
	v_add_u32_e32 v14, v36, v39
	buffer_store_dword v17, off, s[36:39], 0 offset:448 ; 4-byte Folded Spill
	v_add_u32_e32 v17, v17, v10
	v_div_fmas_f64 v[0:1], v[15:16], v[0:1], v[11:12]
	buffer_store_dword v26, off, s[36:39], 0 offset:400 ; 4-byte Folded Spill
	buffer_store_dword v14, off, s[36:39], 0 offset:440 ; 4-byte Folded Spill
	v_add_u32_e32 v14, v14, v10
	buffer_store_dword v17, off, s[36:39], 0 offset:360 ; 4-byte Folded Spill
	buffer_store_dword v0, off, s[36:39], 0 offset:424 ; 4-byte Folded Spill
	s_nop 0
	buffer_store_dword v1, off, s[36:39], 0 offset:428 ; 4-byte Folded Spill
	v_add_u32_e32 v0, s4, v14
	v_ashrrev_i32_e32 v1, 31, v0
	v_lshlrev_b64 v[0:1], 3, v[0:1]
	v_mov_b32_e32 v12, v14
	v_add_u32_e32 v14, s4, v17
	v_mov_b32_e32 v25, s23
	v_add_co_u32_e32 v32, vcc, s22, v0
	v_ashrrev_i32_e32 v15, 31, v14
	v_addc_co_u32_e32 v33, vcc, v25, v1, vcc
	v_lshlrev_b64 v[0:1], 3, v[14:15]
	v_mov_b32_e32 v13, s23
	v_add_co_u32_e32 v37, vcc, s22, v0
	v_add_u32_e32 v0, s5, v26
	v_addc_co_u32_e32 v38, vcc, v13, v1, vcc
	v_ashrrev_i32_e32 v1, 31, v0
	v_lshlrev_b64 v[0:1], 3, v[0:1]
	v_mov_b32_e32 v11, s17
	v_add_co_u32_e32 v24, vcc, s16, v0
	v_add_u32_e32 v0, s5, v12
	v_addc_co_u32_e32 v25, vcc, v11, v1, vcc
	v_ashrrev_i32_e32 v1, 31, v0
	v_lshlrev_b64 v[0:1], 3, v[0:1]
	buffer_store_dword v12, off, s[36:39], 0 offset:320 ; 4-byte Folded Spill
	v_add_co_u32_e32 v26, vcc, s16, v0
	v_addc_co_u32_e32 v27, vcc, v11, v1, vcc
	v_add_u32_e32 v11, s6, v19
	v_add_u32_e32 v57, v9, v11
	v_add_u32_e32 v9, v57, v10
	v_add_u32_e32 v15, s4, v9
	v_mov_b32_e32 v0, s19
	v_add_co_u32_e32 v12, vcc, s18, v2
	v_ashrrev_i32_e32 v16, 31, v15
	v_addc_co_u32_e32 v13, vcc, v0, v3, vcc
	v_lshlrev_b64 v[0:1], 3, v[15:16]
	v_mov_b32_e32 v17, s23
	v_add_co_u32_e32 v16, vcc, s22, v0
	v_addc_co_u32_e32 v17, vcc, v17, v1, vcc
	global_load_dwordx2 v[44:45], v[12:13], off
	s_nop 0
	global_load_dwordx2 v[12:13], v[16:17], off
	s_mov_b32 s0, 0
	s_mov_b32 s1, 0x40080000
	s_lshl_b32 s6, s4, 1
	s_mov_b32 s2, 0
	s_mov_b32 s3, 0xbfe80000
	v_add_u32_e32 v14, s6, v14
	s_waitcnt vmcnt(1)
	v_mov_b32_e32 v49, v45
	s_waitcnt vmcnt(0)
	v_mul_f64 v[16:17], v[44:45], v[12:13]
	v_mov_b32_e32 v48, v44
	buffer_store_dword v48, off, s[36:39], 0 offset:584 ; 4-byte Folded Spill
	s_nop 0
	buffer_store_dword v49, off, s[36:39], 0 offset:588 ; 4-byte Folded Spill
	v_mul_f64 v[12:13], v[12:13], v[16:17]
	global_load_dwordx2 v[16:17], v[30:31], off
	s_waitcnt vmcnt(0)
	buffer_store_dword v16, off, s[36:39], 0 offset:416 ; 4-byte Folded Spill
	s_nop 0
	buffer_store_dword v17, off, s[36:39], 0 offset:420 ; 4-byte Folded Spill
	global_load_dwordx2 v[44:45], v[22:23], off
	s_waitcnt vmcnt(0)
	buffer_store_dword v44, off, s[36:39], 0 offset:408 ; 4-byte Folded Spill
	s_nop 0
	buffer_store_dword v45, off, s[36:39], 0 offset:412 ; 4-byte Folded Spill
	;; [unrolled: 5-line block ×3, first 2 shown]
	global_load_dwordx2 v[30:31], v[37:38], off
	v_mul_f64 v[16:17], v[16:17], v[44:45]
	s_waitcnt vmcnt(0)
	buffer_store_dword v30, off, s[36:39], 0 offset:392 ; 4-byte Folded Spill
	s_nop 0
	buffer_store_dword v31, off, s[36:39], 0 offset:396 ; 4-byte Folded Spill
	global_load_dwordx2 v[20:21], v[28:29], off
	s_waitcnt vmcnt(0)
	buffer_store_dword v20, off, s[36:39], 0 offset:328 ; 4-byte Folded Spill
	s_nop 0
	buffer_store_dword v21, off, s[36:39], 0 offset:332 ; 4-byte Folded Spill
	global_load_dwordx2 v[28:29], v[32:33], off
	v_mul_f64 v[32:33], v[44:45], v[16:17]
	v_mul_f64 v[16:17], v[22:23], v[30:31]
	s_waitcnt vmcnt(0)
	buffer_store_dword v28, off, s[36:39], 0 offset:336 ; 4-byte Folded Spill
	s_nop 0
	buffer_store_dword v29, off, s[36:39], 0 offset:340 ; 4-byte Folded Spill
	v_mul_f64 v[22:23], v[30:31], v[16:17]
	v_mul_f64 v[16:17], v[20:21], v[28:29]
	;; [unrolled: 1-line block ×5, first 2 shown]
	buffer_store_dword v40, off, s[36:39], 0 offset:624 ; 4-byte Folded Spill
	s_nop 0
	buffer_store_dword v41, off, s[36:39], 0 offset:628 ; 4-byte Folded Spill
	buffer_store_dword v42, off, s[36:39], 0 offset:632 ; 4-byte Folded Spill
	;; [unrolled: 1-line block ×3, first 2 shown]
	global_load_dwordx4 v[44:47], v[4:5], off offset:-16
	v_fma_f64 v[22:23], v[42:43], v[22:23], v[16:17]
	s_waitcnt vmcnt(0)
	v_fma_f64 v[30:31], v[44:45], v[32:33], v[20:21]
	v_fma_f64 v[37:38], v[46:47], v[28:29], v[16:17]
	;; [unrolled: 1-line block ×3, first 2 shown]
	v_add_u32_e32 v30, s6, v15
	v_ashrrev_i32_e32 v31, 31, v30
	v_lshlrev_b64 v[30:31], 3, v[30:31]
	buffer_store_dword v30, off, s[36:39], 0 offset:48 ; 4-byte Folded Spill
	s_nop 0
	buffer_store_dword v31, off, s[36:39], 0 offset:52 ; 4-byte Folded Spill
	v_mov_b32_e32 v15, s17
	v_add_co_u32_e32 v30, vcc, s16, v30
	v_addc_co_u32_e32 v31, vcc, v15, v31, vcc
	global_load_dwordx2 v[50:51], v[30:31], off
	s_nop 0
	global_load_dwordx2 v[26:27], v[26:27], off
	v_add_u32_e32 v15, 2, v19
	global_load_dwordx2 v[24:25], v[24:25], off
	s_nop 0
	buffer_store_dword v44, off, s[36:39], 0 offset:464 ; 4-byte Folded Spill
	s_nop 0
	buffer_store_dword v45, off, s[36:39], 0 offset:468 ; 4-byte Folded Spill
	buffer_store_dword v46, off, s[36:39], 0 offset:472 ; 4-byte Folded Spill
	;; [unrolled: 1-line block ×3, first 2 shown]
	v_mov_b32_e32 v19, s19
	v_mul_f64 v[28:29], v[46:47], v[28:29]
	s_waitcnt vmcnt(5)
	v_add_f64 v[26:27], v[26:27], -v[50:51]
	v_fma_f64 v[32:33], v[44:45], v[32:33], v[16:17]
	s_waitcnt vmcnt(4)
	v_add_f64 v[24:25], v[24:25], -v[50:51]
	v_mul_f64 v[26:27], v[37:38], v[26:27]
	v_fma_f64 v[32:33], v[32:33], s[2:3], v[28:29]
	v_fma_f64 v[24:25], v[32:33], v[24:25], v[26:27]
	v_add_u32_e32 v26, v35, v15
	v_ashrrev_i32_e32 v27, 31, v26
	v_lshlrev_b64 v[26:27], 3, v[26:27]
	v_add_u32_e32 v15, v36, v15
	v_add_co_u32_e32 v26, vcc, s18, v26
	v_addc_co_u32_e32 v27, vcc, v19, v27, vcc
	global_load_dwordx2 v[37:38], v[26:27], off
	v_mov_b32_e32 v19, s17
	buffer_store_dword v15, off, s[36:39], 0 offset:568 ; 4-byte Folded Spill
	v_add_u32_e32 v15, v15, v10
	v_add_u32_e32 v32, s4, v15
	v_ashrrev_i32_e32 v33, 31, v32
	v_lshlrev_b64 v[35:36], 3, v[32:33]
	buffer_store_dword v15, off, s[36:39], 0 offset:504 ; 4-byte Folded Spill
	v_mov_b32_e32 v15, s23
	v_add_co_u32_e32 v35, vcc, s22, v35
	v_addc_co_u32_e32 v36, vcc, v15, v36, vcc
	s_waitcnt vmcnt(2)
	buffer_store_dword v37, off, s[36:39], 0 offset:496 ; 4-byte Folded Spill
	s_nop 0
	buffer_store_dword v38, off, s[36:39], 0 offset:500 ; 4-byte Folded Spill
	global_load_dwordx2 v[26:27], v[35:36], off
	v_ashrrev_i32_e32 v15, 31, v14
	v_lshlrev_b64 v[14:15], 3, v[14:15]
	s_waitcnt vmcnt(0)
	buffer_store_dword v26, off, s[36:39], 0 offset:480 ; 4-byte Folded Spill
	s_nop 0
	buffer_store_dword v27, off, s[36:39], 0 offset:484 ; 4-byte Folded Spill
	global_load_dwordx2 v[30:31], v[4:5], off offset:16
	v_add_co_u32_e32 v14, vcc, s16, v14
	v_addc_co_u32_e32 v15, vcc, v19, v15, vcc
	v_mul_f64 v[4:5], v[37:38], v[26:27]
	v_mul_f64 v[4:5], v[26:27], v[4:5]
	s_waitcnt vmcnt(0)
	v_fma_f64 v[26:27], v[30:31], v[4:5], v[28:29]
	buffer_store_dword v30, off, s[36:39], 0 offset:488 ; 4-byte Folded Spill
	s_nop 0
	buffer_store_dword v31, off, s[36:39], 0 offset:492 ; 4-byte Folded Spill
	global_load_dwordx2 v[14:15], v[14:15], off
	v_fma_f64 v[22:23], v[22:23], s[0:1], v[26:27]
	v_fma_f64 v[4:5], v[30:31], v[4:5], v[16:17]
	s_waitcnt vmcnt(0)
	v_add_f64 v[14:15], v[14:15], -v[50:51]
	v_fma_f64 v[4:5], v[4:5], s[2:3], v[20:21]
	v_mov_b32_e32 v20, s19
	v_fma_f64 v[14:15], v[22:23], v[14:15], v[24:25]
	v_add_u32_e32 v22, s6, v32
	v_ashrrev_i32_e32 v23, 31, v22
	v_lshlrev_b64 v[22:23], 3, v[22:23]
	v_mov_b32_e32 v25, s23
	v_add_co_u32_e32 v22, vcc, s16, v22
	v_addc_co_u32_e32 v23, vcc, v19, v23, vcc
	global_load_dwordx2 v[16:17], v[22:23], off
	s_waitcnt vmcnt(0)
	v_add_f64 v[16:17], v[16:17], -v[50:51]
	v_fma_f64 v[4:5], v[4:5], v[16:17], v[14:15]
	buffer_store_dword v4, off, s[36:39], 0 offset:344 ; 4-byte Folded Spill
	s_nop 0
	buffer_store_dword v5, off, s[36:39], 0 offset:348 ; 4-byte Folded Spill
	v_add_u32_e32 v4, -2, v18
	v_mul_lo_u32 v19, v4, s28
	v_add_u32_e32 v18, v10, v34
	v_mov_b32_e32 v15, s19
	v_mov_b32_e32 v17, s23
	v_add_u32_e32 v4, v18, v19
	v_ashrrev_i32_e32 v5, 31, v4
	v_lshlrev_b64 v[4:5], 3, v[4:5]
	v_add_co_u32_e32 v14, vcc, s18, v4
	v_addc_co_u32_e32 v15, vcc, v15, v5, vcc
	global_load_dwordx2 v[14:15], v[14:15], off
	v_add_u32_e32 v4, v19, v11
	v_add_u32_e32 v5, v4, v10
	buffer_store_dword v4, off, s[36:39], 0 offset:208 ; 4-byte Folded Spill
	v_add_u32_e32 v4, s4, v5
	v_mov_b32_e32 v33, v5
	v_ashrrev_i32_e32 v5, 31, v4
	v_lshlrev_b64 v[4:5], 3, v[4:5]
	v_add_u32_e32 v19, s28, v19
	v_add_co_u32_e32 v16, vcc, s22, v4
	v_add_u32_e32 v4, v18, v19
	v_addc_co_u32_e32 v17, vcc, v17, v5, vcc
	v_ashrrev_i32_e32 v5, 31, v4
	v_lshlrev_b64 v[4:5], 3, v[4:5]
	buffer_store_dword v33, off, s[36:39], 0 offset:256 ; 4-byte Folded Spill
	v_add_co_u32_e32 v22, vcc, s18, v4
	v_add_u32_e32 v4, v19, v11
	buffer_store_dword v4, off, s[36:39], 0 offset:216 ; 4-byte Folded Spill
	v_add_u32_e32 v4, v4, v10
	v_addc_co_u32_e32 v23, vcc, v20, v5, vcc
	v_add_u32_e32 v20, s4, v4
	v_ashrrev_i32_e32 v21, 31, v20
	buffer_store_dword v4, off, s[36:39], 0 offset:192 ; 4-byte Folded Spill
	v_lshlrev_b64 v[4:5], 3, v[20:21]
	v_lshl_add_u32 v19, s28, 1, v19
	v_add_co_u32_e32 v24, vcc, s22, v4
	v_add_u32_e32 v4, v18, v19
	v_addc_co_u32_e32 v25, vcc, v25, v5, vcc
	v_ashrrev_i32_e32 v5, 31, v4
	v_lshlrev_b64 v[4:5], 3, v[4:5]
	v_mov_b32_e32 v21, s19
	v_add_co_u32_e32 v26, vcc, s18, v4
	v_add_u32_e32 v4, v19, v11
	buffer_store_dword v4, off, s[36:39], 0 offset:224 ; 4-byte Folded Spill
	v_add_u32_e32 v4, v4, v10
	buffer_store_dword v4, off, s[36:39], 0 offset:200 ; 4-byte Folded Spill
	s_waitcnt vmcnt(6)
	buffer_store_dword v14, off, s[36:39], 0 offset:184 ; 4-byte Folded Spill
	s_nop 0
	buffer_store_dword v15, off, s[36:39], 0 offset:188 ; 4-byte Folded Spill
	global_load_dwordx2 v[30:31], v[16:17], off
	v_addc_co_u32_e32 v27, vcc, v21, v5, vcc
	s_waitcnt vmcnt(0)
	buffer_store_dword v30, off, s[36:39], 0 offset:176 ; 4-byte Folded Spill
	s_nop 0
	buffer_store_dword v31, off, s[36:39], 0 offset:180 ; 4-byte Folded Spill
	global_load_dwordx2 v[16:17], v[26:27], off
	v_add_u32_e32 v4, s4, v4
	v_ashrrev_i32_e32 v5, 31, v4
	v_lshlrev_b64 v[28:29], 3, v[4:5]
	v_mov_b32_e32 v21, s23
	v_add_co_u32_e32 v28, vcc, s22, v28
	v_addc_co_u32_e32 v29, vcc, v21, v29, vcc
	s_waitcnt vmcnt(0)
	buffer_store_dword v16, off, s[36:39], 0 offset:168 ; 4-byte Folded Spill
	s_nop 0
	buffer_store_dword v17, off, s[36:39], 0 offset:172 ; 4-byte Folded Spill
	global_load_dwordx2 v[28:29], v[28:29], off
	s_waitcnt vmcnt(0)
	buffer_store_dword v28, off, s[36:39], 0 offset:160 ; 4-byte Folded Spill
	s_nop 0
	buffer_store_dword v29, off, s[36:39], 0 offset:164 ; 4-byte Folded Spill
	global_load_dwordx2 v[26:27], v[22:23], off
	;; [unrolled: 5-line block ×3, first 2 shown]
	s_waitcnt vmcnt(0)
	buffer_store_dword v23, off, s[36:39], 0 offset:144 ; 4-byte Folded Spill
	s_nop 0
	buffer_store_dword v24, off, s[36:39], 0 offset:148 ; 4-byte Folded Spill
	v_mul_f64 v[14:15], v[14:15], v[30:31]
	v_mov_b32_e32 v5, s17
	v_mul_f64 v[21:22], v[30:31], v[14:15]
	v_mul_f64 v[14:15], v[16:17], v[28:29]
	;; [unrolled: 1-line block ×7, first 2 shown]
	buffer_store_dword v52, off, s[36:39], 0 ; 4-byte Folded Spill
	s_nop 0
	buffer_store_dword v53, off, s[36:39], 0 offset:4 ; 4-byte Folded Spill
	buffer_store_dword v54, off, s[36:39], 0 offset:8 ; 4-byte Folded Spill
	;; [unrolled: 1-line block ×3, first 2 shown]
	global_load_dwordx4 v[29:32], v[6:7], off offset:-16
	v_fma_f64 v[16:17], v[54:55], v[16:17], v[14:15]
	s_waitcnt vmcnt(0)
	v_fma_f64 v[25:26], v[29:30], v[21:22], v[12:13]
	v_fma_f64 v[27:28], v[31:32], v[23:24], v[14:15]
	;; [unrolled: 1-line block ×3, first 2 shown]
	v_add_u32_e32 v27, s6, v20
	v_ashrrev_i32_e32 v28, 31, v27
	v_lshlrev_b64 v[27:28], 3, v[27:28]
	buffer_store_dword v27, off, s[36:39], 0 offset:248 ; 4-byte Folded Spill
	s_nop 0
	buffer_store_dword v28, off, s[36:39], 0 offset:252 ; 4-byte Folded Spill
	v_add_co_u32_e32 v27, vcc, s16, v27
	v_addc_co_u32_e32 v28, vcc, v5, v28, vcc
	global_load_dwordx2 v[27:28], v[27:28], off
	s_waitcnt vmcnt(0)
	v_add_f64 v[27:28], v[27:28], -v[50:51]
	v_mul_f64 v[25:26], v[25:26], v[27:28]
	v_add_u32_e32 v27, s5, v33
	v_ashrrev_i32_e32 v28, 31, v27
	v_lshlrev_b64 v[27:28], 3, v[27:28]
	buffer_store_dword v27, off, s[36:39], 0 offset:264 ; 4-byte Folded Spill
	s_nop 0
	buffer_store_dword v28, off, s[36:39], 0 offset:268 ; 4-byte Folded Spill
	v_add_co_u32_e32 v27, vcc, s16, v27
	v_addc_co_u32_e32 v28, vcc, v5, v28, vcc
	global_load_dwordx2 v[27:28], v[27:28], off
	s_nop 0
	buffer_store_dword v29, off, s[36:39], 0 offset:232 ; 4-byte Folded Spill
	s_nop 0
	buffer_store_dword v30, off, s[36:39], 0 offset:236 ; 4-byte Folded Spill
	buffer_store_dword v31, off, s[36:39], 0 offset:240 ; 4-byte Folded Spill
	;; [unrolled: 1-line block ×3, first 2 shown]
	v_add_u32_e32 v5, s28, v19
	v_add_u32_e32 v18, v18, v5
	v_ashrrev_i32_e32 v19, 31, v18
	v_lshlrev_b64 v[18:19], 3, v[18:19]
	v_add_u32_e32 v5, v5, v11
	v_add_co_u32_e32 v18, vcc, s18, v18
	buffer_store_dword v5, off, s[36:39], 0 offset:560 ; 4-byte Folded Spill
	v_add_u32_e32 v5, v5, v10
	v_add_u32_e32 v10, s4, v5
	v_ashrrev_i32_e32 v11, 31, v10
	buffer_store_dword v5, off, s[36:39], 0 offset:288 ; 4-byte Folded Spill
	v_mov_b32_e32 v5, s23
	v_mul_f64 v[23:24], v[31:32], v[23:24]
	v_fma_f64 v[20:21], v[29:30], v[21:22], v[14:15]
	s_waitcnt vmcnt(6)
	v_add_f64 v[27:28], v[27:28], -v[50:51]
	v_mov_b32_e32 v22, s19
	v_addc_co_u32_e32 v19, vcc, v22, v19, vcc
	v_fma_f64 v[20:21], v[20:21], s[2:3], v[23:24]
	v_fma_f64 v[20:21], v[20:21], v[27:28], v[25:26]
	global_load_dwordx2 v[27:28], v[18:19], off
	v_lshlrev_b64 v[25:26], 3, v[10:11]
	s_waitcnt vmcnt(0)
	buffer_store_dword v27, off, s[36:39], 0 offset:296 ; 4-byte Folded Spill
	s_nop 0
	buffer_store_dword v28, off, s[36:39], 0 offset:300 ; 4-byte Folded Spill
	v_add_co_u32_e32 v25, vcc, s22, v25
	v_addc_co_u32_e32 v26, vcc, v5, v26, vcc
	global_load_dwordx2 v[18:19], v[25:26], off
	s_waitcnt vmcnt(0)
	buffer_store_dword v18, off, s[36:39], 0 offset:280 ; 4-byte Folded Spill
	s_nop 0
	buffer_store_dword v19, off, s[36:39], 0 offset:284 ; 4-byte Folded Spill
	global_load_dwordx2 v[25:26], v[6:7], off offset:16
	v_mul_f64 v[5:6], v[27:28], v[18:19]
	v_mul_f64 v[5:6], v[18:19], v[5:6]
	s_waitcnt vmcnt(0)
	v_fma_f64 v[18:19], v[25:26], v[5:6], v[23:24]
	buffer_store_dword v25, off, s[36:39], 0 offset:304 ; 4-byte Folded Spill
	s_nop 0
	buffer_store_dword v26, off, s[36:39], 0 offset:308 ; 4-byte Folded Spill
	v_fma_f64 v[16:17], v[16:17], s[0:1], v[18:19]
	v_add_u32_e32 v18, s6, v4
	v_ashrrev_i32_e32 v19, 31, v18
	v_lshlrev_b64 v[18:19], 3, v[18:19]
	buffer_store_dword v18, off, s[36:39], 0 offset:272 ; 4-byte Folded Spill
	s_nop 0
	buffer_store_dword v19, off, s[36:39], 0 offset:276 ; 4-byte Folded Spill
	v_mov_b32_e32 v4, s17
	v_add_co_u32_e32 v18, vcc, s16, v18
	v_addc_co_u32_e32 v19, vcc, v4, v19, vcc
	v_fma_f64 v[4:5], v[25:26], v[5:6], v[14:15]
	v_add_u32_e32 v6, s6, v10
	v_ashrrev_i32_e32 v7, 31, v6
	v_lshlrev_b64 v[10:11], 3, v[6:7]
	global_load_dwordx2 v[18:19], v[18:19], off
	s_nop 0
	buffer_store_dword v10, off, s[36:39], 0 offset:312 ; 4-byte Folded Spill
	s_nop 0
	buffer_store_dword v11, off, s[36:39], 0 offset:316 ; 4-byte Folded Spill
	v_mov_b32_e32 v7, s17
	v_fma_f64 v[4:5], v[4:5], s[2:3], v[12:13]
	v_add_co_u32_e32 v6, vcc, s16, v10
	v_addc_co_u32_e32 v7, vcc, v7, v11, vcc
	global_load_dwordx2 v[6:7], v[6:7], off
	s_waitcnt vmcnt(3)
	v_add_f64 v[18:19], v[18:19], -v[50:51]
	v_fma_f64 v[16:17], v[16:17], v[18:19], v[20:21]
	s_waitcnt vmcnt(0)
	v_add_f64 v[6:7], v[6:7], -v[50:51]
	v_fma_f64 v[4:5], v[4:5], v[6:7], v[16:17]
	buffer_store_dword v4, off, s[36:39], 0 offset:352 ; 4-byte Folded Spill
	s_nop 0
	buffer_store_dword v5, off, s[36:39], 0 offset:356 ; 4-byte Folded Spill
	v_add_u32_e32 v4, -2, v8
	v_mul_lo_u32 v5, v4, s7
	v_mov_b32_e32 v6, s19
	v_add_u32_e32 v4, v5, v56
	v_mov_b32_e32 v7, v5
	v_ashrrev_i32_e32 v5, 31, v4
	v_lshlrev_b64 v[4:5], 3, v[4:5]
	v_add_u32_e32 v30, v7, v57
	v_add_co_u32_e32 v10, vcc, s18, v4
	v_addc_co_u32_e32 v11, vcc, v6, v5, vcc
	v_mov_b32_e32 v6, s21
	v_add_co_u32_e32 v14, vcc, s20, v4
	v_add_u32_e32 v4, s6, v30
	v_addc_co_u32_e32 v15, vcc, v6, v5, vcc
	v_add_u32_e32 v5, s6, v4
	v_ashrrev_i32_e32 v6, 31, v5
	v_lshlrev_b64 v[5:6], 3, v[5:6]
	v_mov_b32_e32 v8, v7
	v_mov_b32_e32 v7, s23
	v_add_co_u32_e32 v16, vcc, s22, v5
	v_addc_co_u32_e32 v17, vcc, v7, v6, vcc
	v_add_u32_e32 v6, s7, v8
	v_add_u32_e32 v5, v6, v56
	buffer_store_dword v8, off, s[36:39], 0 offset:80 ; 4-byte Folded Spill
	v_mov_b32_e32 v8, v6
	v_ashrrev_i32_e32 v6, 31, v5
	v_lshlrev_b64 v[5:6], 3, v[5:6]
	v_mov_b32_e32 v7, s19
	v_add_co_u32_e32 v20, vcc, s18, v5
	v_addc_co_u32_e32 v21, vcc, v7, v6, vcc
	v_mov_b32_e32 v7, s21
	v_add_co_u32_e32 v22, vcc, s20, v5
	v_add_u32_e32 v31, v8, v57
	v_addc_co_u32_e32 v23, vcc, v7, v6, vcc
	v_add_u32_e32 v6, s6, v31
	v_add_u32_e32 v7, s6, v6
	v_mov_b32_e32 v24, v8
	v_ashrrev_i32_e32 v8, 31, v7
	v_lshlrev_b64 v[7:8], 3, v[7:8]
	v_mov_b32_e32 v5, s23
	v_add_co_u32_e32 v26, vcc, s22, v7
	v_addc_co_u32_e32 v27, vcc, v5, v8, vcc
	v_mov_b32_e32 v5, s21
	v_add_co_u32_e32 v2, vcc, s20, v2
	v_addc_co_u32_e32 v3, vcc, v5, v3, vcc
	global_load_dwordx2 v[2:3], v[2:3], off
	v_add_u32_e32 v8, s6, v9
	v_add_u32_e32 v12, s6, v8
	v_ashrrev_i32_e32 v13, 31, v12
	v_lshlrev_b64 v[12:13], 3, v[12:13]
	v_mov_b32_e32 v5, s23
	v_add_co_u32_e32 v18, vcc, s22, v12
	v_addc_co_u32_e32 v19, vcc, v5, v13, vcc
	v_lshl_add_u32 v5, s7, 1, v24
	v_add_u32_e32 v12, v5, v56
	v_ashrrev_i32_e32 v13, 31, v12
	v_lshlrev_b64 v[12:13], 3, v[12:13]
	v_mov_b32_e32 v7, v5
	v_mov_b32_e32 v5, s19
	v_add_co_u32_e32 v32, vcc, s18, v12
	v_add_u32_e32 v36, v7, v57
	buffer_store_dword v24, off, s[36:39], 0 offset:600 ; 4-byte Folded Spill
	v_addc_co_u32_e32 v33, vcc, v5, v13, vcc
	v_add_u32_e32 v24, s6, v36
	v_mov_b32_e32 v5, s21
	v_add_co_u32_e32 v34, vcc, s20, v12
	v_add_u32_e32 v12, s6, v24
	v_addc_co_u32_e32 v35, vcc, v5, v13, vcc
	v_ashrrev_i32_e32 v13, 31, v12
	v_lshlrev_b64 v[12:13], 3, v[12:13]
	v_mov_b32_e32 v5, s23
	v_add_co_u32_e32 v38, vcc, s22, v12
	v_addc_co_u32_e32 v39, vcc, v5, v13, vcc
	v_mov_b32_e32 v5, s17
	v_add_co_u32_e32 v0, vcc, s16, v0
	v_addc_co_u32_e32 v1, vcc, v5, v1, vcc
	v_ashrrev_i32_e32 v5, 31, v4
	v_lshlrev_b64 v[58:59], 3, v[4:5]
	v_mov_b32_e32 v37, v7
	v_ashrrev_i32_e32 v7, 31, v6
	v_mov_b32_e32 v5, s23
	v_add_co_u32_e32 v4, vcc, s22, v58
	v_lshlrev_b64 v[12:13], 3, v[6:7]
	v_addc_co_u32_e32 v5, vcc, v5, v59, vcc
	v_ashrrev_i32_e32 v9, 31, v8
	v_mov_b32_e32 v6, s23
	v_add_co_u32_e32 v44, vcc, s22, v12
	v_lshlrev_b64 v[7:8], 3, v[8:9]
	v_addc_co_u32_e32 v45, vcc, v6, v13, vcc
	v_add_co_u32_e32 v28, vcc, s22, v7
	buffer_store_dword v37, off, s[36:39], 0 offset:620 ; 4-byte Folded Spill
	v_addc_co_u32_e32 v29, vcc, v6, v8, vcc
	s_waitcnt vmcnt(2)
	buffer_store_dword v2, off, s[36:39], 0 offset:376 ; 4-byte Folded Spill
	s_nop 0
	buffer_store_dword v3, off, s[36:39], 0 offset:380 ; 4-byte Folded Spill
	global_load_dwordx2 v[28:29], v[28:29], off
	s_nop 0
	global_load_dwordx2 v[40:41], v[18:19], off
	global_load_dwordx2 v[42:43], v[32:33], off
	s_waitcnt vmcnt(0)
	buffer_store_dword v42, off, s[36:39], 0 offset:24 ; 4-byte Folded Spill
	s_nop 0
	buffer_store_dword v43, off, s[36:39], 0 offset:28 ; 4-byte Folded Spill
	global_load_dwordx2 v[32:33], v[34:35], off
	s_waitcnt vmcnt(0)
	buffer_store_dword v32, off, s[36:39], 0 offset:40 ; 4-byte Folded Spill
	s_nop 0
	buffer_store_dword v33, off, s[36:39], 0 offset:44 ; 4-byte Folded Spill
	;; [unrolled: 5-line block ×4, first 2 shown]
	global_load_dwordx2 v[20:21], v[20:21], off
	v_ashrrev_i32_e32 v25, 31, v24
	v_lshlrev_b64 v[24:25], 3, v[24:25]
	s_waitcnt vmcnt(0)
	buffer_store_dword v20, off, s[36:39], 0 offset:16 ; 4-byte Folded Spill
	s_nop 0
	buffer_store_dword v21, off, s[36:39], 0 offset:20 ; 4-byte Folded Spill
	v_add_co_u32_e32 v46, vcc, s22, v24
	v_addc_co_u32_e32 v47, vcc, v6, v25, vcc
	global_load_dwordx2 v[52:53], v[46:47], off
	s_waitcnt vmcnt(0)
	buffer_store_dword v52, off, s[36:39], 0 offset:104 ; 4-byte Folded Spill
	s_nop 0
	buffer_store_dword v53, off, s[36:39], 0 offset:108 ; 4-byte Folded Spill
	global_load_dwordx2 v[9:10], v[22:23], off
	s_waitcnt vmcnt(0)
	buffer_store_dword v9, off, s[36:39], 0 offset:32 ; 4-byte Folded Spill
	s_nop 0
	buffer_store_dword v10, off, s[36:39], 0 offset:36 ; 4-byte Folded Spill
	global_load_dwordx2 v[60:61], v[4:5], off
	s_waitcnt vmcnt(0)
	buffer_store_dword v60, off, s[36:39], 0 offset:112 ; 4-byte Folded Spill
	s_nop 0
	buffer_store_dword v61, off, s[36:39], 0 offset:116 ; 4-byte Folded Spill
	global_load_dwordx2 v[22:23], v[38:39], off
	global_load_dwordx2 v[4:5], v[44:45], off
	v_add_f64 v[2:3], v[48:49], v[2:3]
	s_waitcnt vmcnt(0)
	buffer_store_dword v4, off, s[36:39], 0 offset:96 ; 4-byte Folded Spill
	s_nop 0
	buffer_store_dword v5, off, s[36:39], 0 offset:100 ; 4-byte Folded Spill
	global_load_dwordx2 v[18:19], v[16:17], off
	global_load_dwordx2 v[34:35], v[26:27], off
	s_nop 0
	buffer_store_dword v2, off, s[36:39], 0 offset:552 ; 4-byte Folded Spill
	s_nop 0
	buffer_store_dword v3, off, s[36:39], 0 offset:556 ; 4-byte Folded Spill
	v_add_f64 v[46:47], v[42:43], v[32:33]
	v_add_f64 v[38:39], v[54:55], v[14:15]
	v_mov_b32_e32 v6, s17
	v_mov_b32_e32 v11, s17
	v_mul_f64 v[48:49], v[46:47], v[52:53]
	v_mov_b32_e32 v45, v39
	v_mov_b32_e32 v44, v38
	v_mul_f64 v[62:63], v[48:49], v[22:23]
	v_mul_f64 v[2:3], v[2:3], v[28:29]
	;; [unrolled: 1-line block ×3, first 2 shown]
	v_add_f64 v[2:3], v[20:21], v[9:10]
	v_mul_f64 v[9:10], v[38:39], v[60:61]
	v_mul_f64 v[14:15], v[2:3], v[4:5]
	v_mov_b32_e32 v39, v3
	v_mov_b32_e32 v38, v2
	s_waitcnt vmcnt(3)
	v_fma_f64 v[2:3], v[9:10], v[18:19], v[62:63]
	v_fma_f64 v[9:10], v[9:10], v[18:19], v[16:17]
	s_waitcnt vmcnt(2)
	v_fma_f64 v[4:5], v[14:15], v[34:35], v[16:17]
	v_mul_f64 v[60:61], v[14:15], v[34:35]
	v_fma_f64 v[2:3], v[4:5], s[0:1], v[2:3]
	v_add_u32_e32 v4, s4, v31
	v_ashrrev_i32_e32 v5, 31, v4
	v_lshlrev_b64 v[20:21], 3, v[4:5]
	buffer_store_dword v20, off, s[36:39], 0 offset:604 ; 4-byte Folded Spill
	s_nop 0
	buffer_store_dword v21, off, s[36:39], 0 offset:608 ; 4-byte Folded Spill
	v_fma_f64 v[9:10], v[9:10], s[2:3], v[60:61]
	v_add_co_u32_e32 v5, vcc, s16, v20
	v_addc_co_u32_e32 v6, vcc, v6, v21, vcc
	global_load_dwordx2 v[0:1], v[0:1], off
	s_nop 0
	global_load_dwordx2 v[5:6], v[5:6], off
	s_waitcnt vmcnt(0)
	v_add_f64 v[5:6], v[5:6], -v[0:1]
	v_mul_f64 v[5:6], v[2:3], v[5:6]
	v_add_u32_e32 v2, s4, v30
	v_ashrrev_i32_e32 v3, 31, v2
	v_lshlrev_b64 v[52:53], 3, v[2:3]
	v_mov_b32_e32 v3, s19
	v_add_co_u32_e32 v20, vcc, s16, v52
	v_addc_co_u32_e32 v21, vcc, v11, v53, vcc
	global_load_dwordx2 v[20:21], v[20:21], off
	v_add_u32_e32 v11, s7, v37
	buffer_store_dword v11, off, s[36:39], 0 offset:88 ; 4-byte Folded Spill
	s_lshl_b32 s7, s4, 2
	s_waitcnt vmcnt(1)
	v_add_f64 v[14:15], v[20:21], -v[0:1]
	v_fma_f64 v[9:10], v[9:10], v[14:15], v[5:6]
	v_add_u32_e32 v5, v11, v56
	v_ashrrev_i32_e32 v6, 31, v5
	v_lshlrev_b64 v[5:6], 3, v[5:6]
	v_add_co_u32_e32 v14, vcc, s18, v5
	v_addc_co_u32_e32 v15, vcc, v3, v6, vcc
	global_load_dwordx2 v[14:15], v[14:15], off
	v_mov_b32_e32 v3, s21
	v_add_co_u32_e32 v5, vcc, s20, v5
	v_addc_co_u32_e32 v6, vcc, v3, v6, vcc
	s_waitcnt vmcnt(0)
	buffer_store_dword v14, off, s[36:39], 0 offset:56 ; 4-byte Folded Spill
	s_nop 0
	buffer_store_dword v15, off, s[36:39], 0 offset:60 ; 4-byte Folded Spill
	global_load_dwordx2 v[5:6], v[5:6], off
	v_add_u32_e32 v3, v11, v57
	v_add_u32_e32 v20, s6, v3
	;; [unrolled: 1-line block ×3, first 2 shown]
	v_ashrrev_i32_e32 v27, 31, v26
	s_waitcnt vmcnt(0)
	buffer_store_dword v5, off, s[36:39], 0 offset:368 ; 4-byte Folded Spill
	s_nop 0
	buffer_store_dword v6, off, s[36:39], 0 offset:372 ; 4-byte Folded Spill
	v_lshlrev_b64 v[26:27], 3, v[26:27]
	v_mov_b32_e32 v11, s23
	v_add_co_u32_e32 v30, vcc, s22, v26
	v_ashrrev_i32_e32 v21, 31, v20
	v_addc_co_u32_e32 v31, vcc, v11, v27, vcc
	v_lshlrev_b64 v[26:27], 3, v[20:21]
	v_add_co_u32_e32 v20, vcc, s22, v26
	v_addc_co_u32_e32 v21, vcc, v11, v27, vcc
	global_load_dwordx2 v[20:21], v[20:21], off
	s_nop 0
	global_load_dwordx2 v[54:55], v[30:31], off
	v_fma_f64 v[30:31], v[48:49], v[22:23], v[16:17]
	v_mov_b32_e32 v11, s17
	v_add_f64 v[42:43], v[14:15], v[5:6]
	s_waitcnt vmcnt(1)
	v_mul_f64 v[14:15], v[42:43], v[20:21]
	s_waitcnt vmcnt(0)
	v_fma_f64 v[5:6], v[14:15], v[54:55], v[60:61]
	v_add_u32_e32 v60, s4, v36
	v_ashrrev_i32_e32 v61, 31, v60
	v_fma_f64 v[5:6], v[30:31], s[0:1], v[5:6]
	v_lshlrev_b64 v[30:31], 3, v[60:61]
	buffer_store_dword v30, off, s[36:39], 0 offset:612 ; 4-byte Folded Spill
	s_nop 0
	buffer_store_dword v31, off, s[36:39], 0 offset:616 ; 4-byte Folded Spill
	v_add_u32_e32 v61, s4, v3
	v_mov_b32_e32 v3, s17
	v_add_co_u32_e32 v30, vcc, s16, v30
	v_addc_co_u32_e32 v31, vcc, v11, v31, vcc
	global_load_dwordx2 v[30:31], v[30:31], off
	s_waitcnt vmcnt(0)
	v_add_f64 v[30:31], v[30:31], -v[0:1]
	v_fma_f64 v[5:6], v[5:6], v[30:31], v[9:10]
	v_fma_f64 v[9:10], v[14:15], v[54:55], v[16:17]
	;; [unrolled: 1-line block ×3, first 2 shown]
	v_ashrrev_i32_e32 v62, 31, v61
	v_lshlrev_b64 v[32:33], 3, v[61:62]
	v_add_co_u32_e32 v14, vcc, s16, v32
	v_addc_co_u32_e32 v15, vcc, v3, v33, vcc
	global_load_dwordx2 v[14:15], v[14:15], off
	s_waitcnt vmcnt(0)
	v_add_f64 v[0:1], v[14:15], -v[0:1]
	v_fma_f64 v[0:1], v[9:10], v[0:1], v[5:6]
	buffer_store_dword v0, off, s[36:39], 0 offset:576 ; 4-byte Folded Spill
	s_nop 0
	buffer_store_dword v1, off, s[36:39], 0 offset:580 ; 4-byte Folded Spill
	buffer_load_dword v56, off, s[36:39], 0 offset:48 ; 4-byte Folded Reload
	buffer_load_dword v57, off, s[36:39], 0 offset:52 ; 4-byte Folded Reload
	v_mov_b32_e32 v0, s17
	v_add_co_u32_e32 v9, vcc, s16, v58
	v_addc_co_u32_e32 v10, vcc, v0, v59, vcc
	v_add_co_u32_e32 v6, vcc, s16, v7
	v_addc_co_u32_e32 v7, vcc, v0, v8, vcc
	;; [unrolled: 2-line block ×3, first 2 shown]
	v_add_u32_e32 v0, s6, v2
	v_ashrrev_i32_e32 v1, 31, v0
	v_lshlrev_b64 v[58:59], 3, v[0:1]
	v_mov_b32_e32 v0, s23
	v_add_co_u32_e32 v11, vcc, s22, v58
	v_addc_co_u32_e32 v12, vcc, v0, v59, vcc
	v_add_u32_e32 v0, s6, v4
	v_ashrrev_i32_e32 v1, 31, v0
	v_lshlrev_b64 v[2:3], 3, v[0:1]
	v_mov_b32_e32 v0, s23
	v_add_co_u32_e32 v30, vcc, s22, v2
	v_addc_co_u32_e32 v31, vcc, v0, v3, vcc
	v_mov_b32_e32 v8, s23
	s_waitcnt vmcnt(1)
	v_add_co_u32_e32 v4, vcc, s22, v56
	s_waitcnt vmcnt(0)
	v_addc_co_u32_e32 v5, vcc, v0, v57, vcc
	v_add_u32_e32 v0, s6, v60
	v_ashrrev_i32_e32 v1, 31, v0
	v_lshlrev_b64 v[0:1], 3, v[0:1]
	v_add_co_u32_e32 v36, vcc, s22, v0
	v_addc_co_u32_e32 v37, vcc, v8, v1, vcc
	global_load_dwordx2 v[4:5], v[4:5], off
	s_nop 0
	global_load_dwordx2 v[56:57], v[36:37], off
	global_load_dwordx2 v[16:17], v[11:12], off
	;; [unrolled: 1-line block ×3, first 2 shown]
	s_nop 0
	buffer_load_dword v11, off, s[36:39], 0 offset:552 ; 4-byte Folded Reload
	buffer_load_dword v12, off, s[36:39], 0 offset:556 ; 4-byte Folded Reload
	s_waitcnt vmcnt(4)
	v_mul_f64 v[30:31], v[46:47], v[56:57]
	s_waitcnt vmcnt(3)
	v_mul_f64 v[36:37], v[44:45], v[16:17]
	;; [unrolled: 2-line block ×4, first 2 shown]
	v_mul_f64 v[38:39], v[22:23], v[30:31]
	v_mul_f64 v[12:13], v[40:41], v[11:12]
	v_fma_f64 v[44:45], v[18:19], v[36:37], v[38:39]
	v_fma_f64 v[62:63], v[34:35], v[46:47], v[12:13]
	;; [unrolled: 1-line block ×3, first 2 shown]
	global_load_dwordx2 v[44:45], v[6:7], off
	s_nop 0
	global_load_dwordx2 v[6:7], v[14:15], off
	v_fma_f64 v[14:15], v[18:19], v[36:37], v[12:13]
	global_load_dwordx2 v[8:9], v[9:10], off
	v_mul_f64 v[10:11], v[34:35], v[46:47]
	v_fma_f64 v[14:15], v[14:15], s[2:3], v[10:11]
	s_waitcnt vmcnt(1)
	v_add_f64 v[6:7], v[6:7], -v[44:45]
	s_waitcnt vmcnt(0)
	v_add_f64 v[8:9], v[8:9], -v[44:45]
	v_mul_f64 v[6:7], v[62:63], v[6:7]
	v_fma_f64 v[46:47], v[14:15], v[8:9], v[6:7]
	v_mov_b32_e32 v6, s17
	v_add_co_u32_e32 v14, vcc, s16, v24
	v_addc_co_u32_e32 v15, vcc, v6, v25, vcc
	v_add_u32_e32 v6, s6, v61
	v_ashrrev_i32_e32 v7, 31, v6
	v_lshlrev_b64 v[6:7], 3, v[6:7]
	v_mov_b32_e32 v9, s23
	v_add_co_u32_e32 v8, vcc, s22, v6
	v_addc_co_u32_e32 v9, vcc, v9, v7, vcc
	global_load_dwordx2 v[36:37], v[8:9], off
	v_fma_f64 v[24:25], v[22:23], v[30:31], v[12:13]
	global_load_dwordx2 v[14:15], v[14:15], off
	s_waitcnt vmcnt(1)
	v_mul_f64 v[8:9], v[42:43], v[36:37]
	s_waitcnt vmcnt(0)
	v_add_f64 v[14:15], v[14:15], -v[44:45]
	v_fma_f64 v[10:11], v[54:55], v[8:9], v[10:11]
	v_fma_f64 v[8:9], v[54:55], v[8:9], v[12:13]
	;; [unrolled: 1-line block ×5, first 2 shown]
	v_mov_b32_e32 v15, s17
	v_add_co_u32_e32 v14, vcc, s16, v26
	v_addc_co_u32_e32 v15, vcc, v15, v27, vcc
	global_load_dwordx2 v[12:13], v[14:15], off
	s_waitcnt vmcnt(0)
	v_add_f64 v[12:13], v[12:13], -v[44:45]
	v_fma_f64 v[8:9], v[8:9], v[12:13], v[10:11]
	buffer_store_dword v8, off, s[36:39], 0 offset:592 ; 4-byte Folded Spill
	s_nop 0
	buffer_store_dword v9, off, s[36:39], 0 offset:596 ; 4-byte Folded Spill
	buffer_load_dword v10, off, s[36:39], 0 ; 4-byte Folded Reload
	buffer_load_dword v11, off, s[36:39], 0 offset:4 ; 4-byte Folded Reload
	buffer_load_dword v12, off, s[36:39], 0 offset:8 ; 4-byte Folded Reload
	;; [unrolled: 1-line block ×7, first 2 shown]
	s_waitcnt vmcnt(6)
	v_mul_f64 v[8:9], v[10:11], v[4:5]
	v_mul_f64 v[4:5], v[4:5], v[8:9]
	s_waitcnt vmcnt(2)
	v_mul_f64 v[8:9], v[42:43], v[28:29]
	v_mul_f64 v[4:5], v[10:11], v[4:5]
	;; [unrolled: 1-line block ×3, first 2 shown]
	v_mov_b32_e32 v31, v13
	v_mov_b32_e32 v30, v12
	;; [unrolled: 1-line block ×4, first 2 shown]
	v_fma_f64 v[4:5], v[42:43], v[8:9], v[4:5]
	buffer_load_dword v10, off, s[36:39], 0 offset:584 ; 4-byte Folded Reload
	buffer_load_dword v11, off, s[36:39], 0 offset:588 ; 4-byte Folded Reload
	buffer_load_dword v8, off, s[36:39], 0 offset:376 ; 4-byte Folded Reload
	buffer_load_dword v9, off, s[36:39], 0 offset:380 ; 4-byte Folded Reload
	s_nop 0
	buffer_store_dword v16, off, s[36:39], 0 offset:528 ; 4-byte Folded Spill
	s_nop 0
	buffer_store_dword v17, off, s[36:39], 0 offset:532 ; 4-byte Folded Spill
	buffer_load_dword v14, off, s[36:39], 0 offset:112 ; 4-byte Folded Reload
	buffer_load_dword v15, off, s[36:39], 0 offset:116 ; 4-byte Folded Reload
	s_waitcnt vmcnt(6)
	v_mul_f64 v[4:5], v[10:11], v[4:5]
	s_waitcnt vmcnt(4)
	v_fma_f64 v[8:9], v[10:11], 2.0, v[8:9]
	v_mov_b32_e32 v11, s17
	s_waitcnt vmcnt(0)
	v_mul_f64 v[12:13], v[42:43], v[14:15]
	v_mul_f64 v[8:9], v[8:9], v[40:41]
	;; [unrolled: 1-line block ×3, first 2 shown]
	v_fma_f64 v[4:5], v[40:41], v[8:9], v[4:5]
	v_mov_b32_e32 v9, s17
	v_add_co_u32_e32 v8, vcc, s16, v58
	v_addc_co_u32_e32 v9, vcc, v9, v59, vcc
	v_add_co_u32_e32 v10, vcc, s16, v2
	v_addc_co_u32_e32 v11, vcc, v11, v3, vcc
	v_mul_f64 v[2:3], v[28:29], v[16:17]
	v_mul_f64 v[2:3], v[16:17], v[2:3]
	;; [unrolled: 1-line block ×3, first 2 shown]
	v_fma_f64 v[2:3], v[42:43], v[12:13], v[2:3]
	buffer_load_dword v26, off, s[36:39], 0 offset:72 ; 4-byte Folded Reload
	buffer_load_dword v27, off, s[36:39], 0 offset:76 ; 4-byte Folded Reload
	;; [unrolled: 1-line block ×4, first 2 shown]
	s_nop 0
	buffer_store_dword v18, off, s[36:39], 0 offset:648 ; 4-byte Folded Spill
	s_nop 0
	buffer_store_dword v19, off, s[36:39], 0 offset:652 ; 4-byte Folded Spill
	buffer_store_dword v48, off, s[36:39], 0 offset:512 ; 4-byte Folded Spill
	s_nop 0
	buffer_store_dword v49, off, s[36:39], 0 offset:516 ; 4-byte Folded Spill
	buffer_load_dword v16, off, s[36:39], 0 offset:96 ; 4-byte Folded Reload
	buffer_load_dword v17, off, s[36:39], 0 offset:100 ; 4-byte Folded Reload
	v_mov_b32_e32 v40, v42
	v_mov_b32_e32 v41, v43
	buffer_store_dword v56, off, s[36:39], 0 offset:520 ; 4-byte Folded Spill
	s_nop 0
	buffer_store_dword v57, off, s[36:39], 0 offset:524 ; 4-byte Folded Spill
	v_mov_b32_e32 v42, v44
	v_mov_b32_e32 v43, v45
	;; [unrolled: 1-line block ×3, first 2 shown]
	s_waitcnt vmcnt(10)
	v_mul_f64 v[2:3], v[26:27], v[2:3]
	s_waitcnt vmcnt(8)
	v_fma_f64 v[12:13], v[26:27], 2.0, v[12:13]
	s_waitcnt vmcnt(2)
	v_mul_f64 v[14:15], v[40:41], v[16:17]
	v_mul_f64 v[12:13], v[12:13], v[18:19]
	;; [unrolled: 1-line block ×3, first 2 shown]
	buffer_load_dword v16, off, s[36:39], 0 offset:104 ; 4-byte Folded Reload
	buffer_load_dword v17, off, s[36:39], 0 offset:108 ; 4-byte Folded Reload
	v_fma_f64 v[12:13], v[18:19], v[12:13], v[2:3]
	v_mul_f64 v[2:3], v[28:29], v[48:49]
	v_mul_f64 v[2:3], v[48:49], v[2:3]
	;; [unrolled: 1-line block ×3, first 2 shown]
	v_fma_f64 v[14:15], v[40:41], v[14:15], v[2:3]
	v_mul_f64 v[2:3], v[28:29], v[56:57]
	v_mul_f64 v[2:3], v[56:57], v[2:3]
	;; [unrolled: 1-line block ×3, first 2 shown]
	s_waitcnt vmcnt(0)
	v_mul_f64 v[18:19], v[40:41], v[16:17]
	v_mul_f64 v[18:19], v[16:17], v[18:19]
	v_fma_f64 v[2:3], v[40:41], v[18:19], v[2:3]
	buffer_load_dword v16, off, s[36:39], 0 offset:24 ; 4-byte Folded Reload
	buffer_load_dword v17, off, s[36:39], 0 offset:28 ; 4-byte Folded Reload
	;; [unrolled: 1-line block ×4, first 2 shown]
	s_nop 0
	buffer_store_dword v22, off, s[36:39], 0 offset:544 ; 4-byte Folded Spill
	s_nop 0
	buffer_store_dword v23, off, s[36:39], 0 offset:548 ; 4-byte Folded Spill
	s_waitcnt vmcnt(4)
	v_mul_f64 v[2:3], v[16:17], v[2:3]
	s_waitcnt vmcnt(2)
	v_fma_f64 v[18:19], v[16:17], 2.0, v[18:19]
	v_mul_f64 v[18:19], v[18:19], v[22:23]
	v_fma_f64 v[2:3], v[22:23], v[18:19], v[2:3]
	buffer_load_dword v16, off, s[36:39], 0 offset:16 ; 4-byte Folded Reload
	buffer_load_dword v17, off, s[36:39], 0 offset:20 ; 4-byte Folded Reload
	;; [unrolled: 1-line block ×4, first 2 shown]
	s_nop 0
	buffer_store_dword v34, off, s[36:39], 0 offset:536 ; 4-byte Folded Spill
	s_nop 0
	buffer_store_dword v35, off, s[36:39], 0 offset:540 ; 4-byte Folded Spill
	global_load_dwordx2 v[10:11], v[10:11], off
	s_waitcnt vmcnt(5)
	v_mul_f64 v[14:15], v[16:17], v[14:15]
	global_load_dwordx2 v[8:9], v[8:9], off
	s_nop 0
	buffer_store_dword v36, off, s[36:39], 0 offset:552 ; 4-byte Folded Spill
	s_nop 0
	buffer_store_dword v37, off, s[36:39], 0 offset:556 ; 4-byte Folded Spill
	buffer_store_dword v20, off, s[36:39], 0 offset:640 ; 4-byte Folded Spill
	s_nop 0
	buffer_store_dword v21, off, s[36:39], 0 offset:644 ; 4-byte Folded Spill
	s_waitcnt vmcnt(8)
	v_fma_f64 v[18:19], v[16:17], 2.0, v[18:19]
	s_waitcnt vmcnt(5)
	v_add_f64 v[10:11], v[10:11], -v[50:51]
	v_mov_b32_e32 v16, s17
	v_mul_f64 v[18:19], v[18:19], v[34:35]
	v_fma_f64 v[14:15], v[34:35], v[18:19], v[14:15]
	v_add_f64 v[18:19], v[12:13], v[2:3]
	v_add_f64 v[12:13], v[12:13], v[4:5]
	;; [unrolled: 1-line block ×3, first 2 shown]
	v_fma_f64 v[12:13], v[12:13], s[2:3], v[14:15]
	v_fma_f64 v[18:19], v[24:25], s[0:1], v[18:19]
	v_mul_f64 v[10:11], v[18:19], v[10:11]
	s_waitcnt vmcnt(4)
	v_add_f64 v[8:9], v[8:9], -v[50:51]
	v_fma_f64 v[8:9], v[12:13], v[8:9], v[10:11]
	v_mul_f64 v[12:13], v[40:41], v[20:21]
	v_mov_b32_e32 v11, s17
	v_add_co_u32_e32 v10, vcc, s16, v0
	v_addc_co_u32_e32 v11, vcc, v11, v1, vcc
	v_mul_f64 v[0:1], v[28:29], v[36:37]
	v_add_co_u32_e32 v6, vcc, s16, v6
	v_mul_f64 v[12:13], v[20:21], v[12:13]
	buffer_load_dword v18, off, s[36:39], 0 offset:56 ; 4-byte Folded Reload
	buffer_load_dword v19, off, s[36:39], 0 offset:60 ; 4-byte Folded Reload
	buffer_load_dword v20, off, s[36:39], 0 offset:368 ; 4-byte Folded Reload
	buffer_load_dword v21, off, s[36:39], 0 offset:372 ; 4-byte Folded Reload
	v_mul_f64 v[0:1], v[36:37], v[0:1]
	global_load_dwordx2 v[10:11], v[10:11], off
	v_mul_f64 v[0:1], v[28:29], v[0:1]
	v_fma_f64 v[0:1], v[40:41], v[12:13], v[0:1]
	s_waitcnt vmcnt(3)
	v_mul_f64 v[0:1], v[18:19], v[0:1]
	v_mov_b32_e32 v23, v19
	s_waitcnt vmcnt(1)
	v_fma_f64 v[12:13], v[18:19], 2.0, v[20:21]
	v_mov_b32_e32 v22, v18
	v_mov_b32_e32 v19, s17
	v_mul_f64 v[20:21], v[20:21], v[54:55]
	s_waitcnt vmcnt(0)
	v_add_f64 v[10:11], v[10:11], -v[50:51]
	v_mul_f64 v[12:13], v[12:13], v[54:55]
	v_fma_f64 v[0:1], v[54:55], v[12:13], v[0:1]
	v_add_f64 v[12:13], v[14:15], v[0:1]
	v_add_f64 v[14:15], v[4:5], v[2:3]
	;; [unrolled: 1-line block ×3, first 2 shown]
	v_fma_f64 v[12:13], v[14:15], s[0:1], v[12:13]
	v_fma_f64 v[0:1], v[0:1], s[2:3], v[2:3]
	v_mov_b32_e32 v14, s17
	s_mov_b32 s1, 0x3fc55555
	s_mov_b32 s0, 0x55555555
	;; [unrolled: 1-line block ×4, first 2 shown]
	v_fma_f64 v[8:9], v[12:13], v[10:11], v[8:9]
	v_mov_b32_e32 v10, s17
	v_addc_co_u32_e32 v7, vcc, v10, v7, vcc
	global_load_dwordx2 v[2:3], v[6:7], off
	buffer_load_dword v49, off, s[36:39], 0 offset:88 ; 4-byte Folded Reload
	buffer_load_dword v35, off, s[36:39], 0 offset:568 ; 4-byte Folded Reload
	;; [unrolled: 1-line block ×6, first 2 shown]
	v_mov_b32_e32 v6, s17
	v_mov_b32_e32 v11, s17
	;; [unrolled: 1-line block ×3, first 2 shown]
	s_waitcnt vmcnt(6)
	v_add_f64 v[2:3], v[2:3], -v[50:51]
	s_waitcnt vmcnt(0)
	v_mov_b32_e32 v45, v30
	v_fma_f64 v[2:3], v[0:1], v[2:3], v[8:9]
	v_add3_u32 v8, v49, v35, s4
	v_ashrrev_i32_e32 v9, 31, v8
	v_mov_b32_e32 v1, s23
	v_add_co_u32_e32 v0, vcc, s22, v32
	v_lshlrev_b64 v[4:5], 3, v[8:9]
	v_addc_co_u32_e32 v1, vcc, v1, v33, vcc
	v_add3_u32 v9, v49, v34, s4
	v_add_co_u32_e32 v4, vcc, s16, v4
	v_ashrrev_i32_e32 v10, 31, v9
	v_addc_co_u32_e32 v5, vcc, v6, v5, vcc
	v_lshlrev_b64 v[6:7], 3, v[9:10]
	v_add3_u32 v10, v49, v57, s4
	v_add_co_u32_e32 v6, vcc, s16, v6
	v_addc_co_u32_e32 v7, vcc, v11, v7, vcc
	v_ashrrev_i32_e32 v11, 31, v10
	v_lshlrev_b64 v[11:12], 3, v[10:11]
	v_add_co_u32_e32 v24, vcc, s16, v11
	v_add3_u32 v11, v49, v48, s4
	v_addc_co_u32_e32 v25, vcc, v13, v12, vcc
	v_ashrrev_i32_e32 v12, 31, v11
	v_lshlrev_b64 v[12:13], 3, v[11:12]
	v_mov_b32_e32 v49, v57
	v_add_co_u32_e32 v28, vcc, s16, v12
	v_add_u32_e32 v12, s6, v8
	v_addc_co_u32_e32 v29, vcc, v14, v13, vcc
	v_ashrrev_i32_e32 v13, 31, v12
	v_lshlrev_b64 v[12:13], 3, v[12:13]
	v_mov_b32_e32 v8, s17
	v_add_co_u32_e32 v12, vcc, s16, v12
	v_addc_co_u32_e32 v13, vcc, v8, v13, vcc
	v_add_u32_e32 v8, s6, v9
	v_ashrrev_i32_e32 v9, 31, v8
	v_lshlrev_b64 v[8:9], 3, v[8:9]
	v_add_co_u32_e32 v8, vcc, s16, v8
	v_addc_co_u32_e32 v9, vcc, v14, v9, vcc
	v_add_u32_e32 v14, s6, v10
	v_ashrrev_i32_e32 v15, 31, v14
	v_lshlrev_b64 v[14:15], 3, v[14:15]
	v_mov_b32_e32 v10, s17
	v_add_co_u32_e32 v14, vcc, s16, v14
	v_addc_co_u32_e32 v15, vcc, v10, v15, vcc
	v_add_u32_e32 v10, s6, v11
	v_ashrrev_i32_e32 v11, 31, v10
	v_lshlrev_b64 v[10:11], 3, v[10:11]
	v_add_co_u32_e32 v10, vcc, s16, v10
	v_addc_co_u32_e32 v11, vcc, v16, v11, vcc
	v_mov_b32_e32 v16, s23
	v_add_co_u32_e32 v32, vcc, s22, v52
	v_addc_co_u32_e32 v33, vcc, v16, v53, vcc
	v_add3_u32 v16, v30, v35, s4
	v_ashrrev_i32_e32 v17, 31, v16
	v_lshlrev_b64 v[17:18], 3, v[16:17]
	v_add_co_u32_e32 v36, vcc, s16, v17
	v_add3_u32 v17, v30, v34, s4
	v_addc_co_u32_e32 v37, vcc, v19, v18, vcc
	v_ashrrev_i32_e32 v18, 31, v17
	v_lshlrev_b64 v[18:19], 3, v[17:18]
	v_mov_b32_e32 v30, s17
	v_add_co_u32_e32 v38, vcc, s16, v18
	v_add3_u32 v18, v45, v57, s4
	v_addc_co_u32_e32 v39, vcc, v30, v19, vcc
	v_ashrrev_i32_e32 v19, 31, v18
	v_lshlrev_b64 v[30:31], 3, v[18:19]
	v_mov_b32_e32 v19, s17
	v_add_co_u32_e32 v46, vcc, s16, v30
	v_add3_u32 v30, v45, v48, s4
	v_addc_co_u32_e32 v47, vcc, v44, v31, vcc
	v_ashrrev_i32_e32 v31, 31, v30
	v_lshlrev_b64 v[44:45], 3, v[30:31]
	v_add_co_u32_e32 v52, vcc, s16, v44
	v_add_u32_e32 v44, s6, v16
	v_addc_co_u32_e32 v53, vcc, v19, v45, vcc
	v_ashrrev_i32_e32 v45, 31, v44
	v_lshlrev_b64 v[44:45], 3, v[44:45]
	v_mov_b32_e32 v16, s17
	v_add_co_u32_e32 v50, vcc, s16, v44
	v_addc_co_u32_e32 v51, vcc, v16, v45, vcc
	v_add_u32_e32 v16, s6, v17
	v_ashrrev_i32_e32 v17, 31, v16
	v_lshlrev_b64 v[16:17], 3, v[16:17]
	v_add_co_u32_e32 v58, vcc, s16, v16
	v_add_u32_e32 v16, s6, v18
	v_addc_co_u32_e32 v59, vcc, v19, v17, vcc
	v_ashrrev_i32_e32 v17, 31, v16
	v_lshlrev_b64 v[16:17], 3, v[16:17]
	v_mov_b32_e32 v18, s17
	v_add_co_u32_e32 v60, vcc, s16, v16
	v_add_u32_e32 v16, s6, v30
	v_addc_co_u32_e32 v61, vcc, v18, v17, vcc
	v_ashrrev_i32_e32 v17, 31, v16
	v_lshlrev_b64 v[16:17], 3, v[16:17]
	v_mul_f64 v[30:31], v[2:3], s[0:1]
	v_add_co_u32_e32 v62, vcc, s16, v16
	v_addc_co_u32_e32 v63, vcc, v18, v17, vcc
	global_load_dwordx2 v[16:17], v[12:13], off
	s_nop 0
	global_load_dwordx2 v[12:13], v[8:9], off
	s_nop 0
	global_load_dwordx2 v[8:9], v[14:15], off
	global_load_dwordx2 v[56:57], v[10:11], off
	s_nop 0
	buffer_load_dword v10, off, s[36:39], 0 offset:344 ; 4-byte Folded Reload
	buffer_load_dword v11, off, s[36:39], 0 offset:348 ; 4-byte Folded Reload
	s_waitcnt vmcnt(4)
	v_add_f64 v[2:3], v[16:17], -v[12:13]
	s_waitcnt vmcnt(0)
	v_mul_f64 v[10:11], v[10:11], s[0:1]
	buffer_store_dword v10, off, s[36:39], 0 offset:376 ; 4-byte Folded Spill
	s_nop 0
	buffer_store_dword v11, off, s[36:39], 0 offset:380 ; 4-byte Folded Spill
	buffer_load_dword v10, off, s[36:39], 0 offset:352 ; 4-byte Folded Reload
	s_nop 0
	buffer_load_dword v11, off, s[36:39], 0 offset:356 ; 4-byte Folded Reload
	s_waitcnt vmcnt(0)
	v_mul_f64 v[10:11], v[10:11], s[0:1]
	buffer_store_dword v10, off, s[36:39], 0 offset:368 ; 4-byte Folded Spill
	s_nop 0
	buffer_store_dword v11, off, s[36:39], 0 offset:372 ; 4-byte Folded Spill
	buffer_load_dword v10, off, s[36:39], 0 offset:576 ; 4-byte Folded Reload
	s_nop 0
	buffer_load_dword v11, off, s[36:39], 0 offset:580 ; 4-byte Folded Reload
	;; [unrolled: 8-line block ×3, first 2 shown]
	s_waitcnt vmcnt(0)
	v_mul_f64 v[10:11], v[10:11], s[0:1]
	buffer_store_dword v10, off, s[36:39], 0 offset:344 ; 4-byte Folded Spill
	s_nop 0
	buffer_store_dword v11, off, s[36:39], 0 offset:348 ; 4-byte Folded Spill
	s_mov_b32 s1, 0xbfb55555
	v_mul_f64 v[2:3], v[2:3], s[0:1]
	v_add_f64 v[10:11], v[8:9], -v[56:57]
	v_fma_f64 v[2:3], v[10:11], s[2:3], v[2:3]
	global_load_dwordx2 v[10:11], v[0:1], off
	s_nop 0
	buffer_load_dword v0, off, s[36:39], 0 offset:640 ; 4-byte Folded Reload
	buffer_load_dword v1, off, s[36:39], 0 offset:644 ; 4-byte Folded Reload
	s_waitcnt vmcnt(2)
	v_mov_b32_e32 v15, v11
	s_waitcnt vmcnt(0)
	v_mul_f64 v[0:1], v[22:23], v[0:1]
	v_mov_b32_e32 v14, v10
	buffer_store_dword v14, off, s[36:39], 0 offset:576 ; 4-byte Folded Spill
	s_nop 0
	buffer_store_dword v15, off, s[36:39], 0 offset:580 ; 4-byte Folded Spill
	v_mul_f64 v[0:1], v[0:1], v[10:11]
	v_mul_f64 v[2:3], v[0:1], v[2:3]
	global_load_dwordx2 v[18:19], v[4:5], off
	s_nop 0
	global_load_dwordx2 v[4:5], v[6:7], off
	global_load_dwordx2 v[44:45], v[24:25], off
	;; [unrolled: 1-line block ×3, first 2 shown]
	s_waitcnt vmcnt(0)
	buffer_store_dword v0, off, s[36:39], 0 offset:640 ; 4-byte Folded Spill
	s_nop 0
	buffer_store_dword v1, off, s[36:39], 0 offset:644 ; 4-byte Folded Spill
	v_add_f64 v[6:7], v[18:19], -v[4:5]
	v_mul_f64 v[2:3], v[40:41], v[2:3]
	v_mul_f64 v[6:7], v[6:7], s[0:1]
	v_add_f64 v[10:11], v[44:45], -v[0:1]
	v_fma_f64 v[6:7], v[10:11], s[2:3], v[6:7]
	buffer_load_dword v10, off, s[36:39], 0 offset:432 ; 4-byte Folded Reload
	buffer_load_dword v11, off, s[36:39], 0 offset:436 ; 4-byte Folded Reload
	buffer_load_dword v22, off, s[36:39], 0 ; 4-byte Folded Reload
	buffer_load_dword v23, off, s[36:39], 0 offset:4 ; 4-byte Folded Reload
	buffer_load_dword v24, off, s[36:39], 0 offset:8 ; 4-byte Folded Reload
	;; [unrolled: 1-line block ×3, first 2 shown]
	s_waitcnt vmcnt(2)
	v_div_fixup_f64 v[0:1], v[10:11], v[22:23], 1.0
	v_mul_f64 v[10:11], v[20:21], v[14:15]
	buffer_store_dword v10, off, s[36:39], 0 offset:432 ; 4-byte Folded Spill
	s_nop 0
	buffer_store_dword v11, off, s[36:39], 0 offset:436 ; 4-byte Folded Spill
	v_mul_f64 v[2:3], v[0:1], v[2:3]
	v_mul_f64 v[6:7], v[10:11], v[6:7]
	v_fma_f64 v[28:29], v[0:1], v[6:7], v[2:3]
	buffer_load_dword v2, off, s[36:39], 0 offset:64 ; 4-byte Folded Reload
	buffer_load_dword v3, off, s[36:39], 0 offset:68 ; 4-byte Folded Reload
	;; [unrolled: 1-line block ×4, first 2 shown]
	s_waitcnt vmcnt(0)
	v_mul_f64 v[22:23], v[2:3], v[6:7]
	global_load_dwordx2 v[20:21], v[50:51], off
	global_load_dwordx2 v[2:3], v[58:59], off
	;; [unrolled: 1-line block ×3, first 2 shown]
	s_nop 0
	global_load_dwordx2 v[50:51], v[62:63], off
	global_load_dwordx2 v[54:55], v[32:33], off
	s_waitcnt vmcnt(0)
	buffer_store_dword v54, off, s[36:39], 0 offset:584 ; 4-byte Folded Spill
	s_nop 0
	buffer_store_dword v55, off, s[36:39], 0 offset:588 ; 4-byte Folded Spill
	v_add_f64 v[6:7], v[20:21], -v[2:3]
	v_add_f64 v[14:15], v[10:11], -v[50:51]
	;; [unrolled: 1-line block ×4, first 2 shown]
	v_mul_f64 v[6:7], v[6:7], s[0:1]
	v_mul_f64 v[2:3], v[2:3], s[0:1]
	;; [unrolled: 1-line block ×3, first 2 shown]
	v_fma_f64 v[6:7], v[14:15], s[2:3], v[6:7]
	buffer_load_dword v14, off, s[36:39], 0 offset:112 ; 4-byte Folded Reload
	buffer_load_dword v15, off, s[36:39], 0 offset:116 ; 4-byte Folded Reload
	s_waitcnt vmcnt(0)
	v_mul_f64 v[14:15], v[26:27], v[14:15]
	v_mul_f64 v[14:15], v[14:15], v[54:55]
	;; [unrolled: 1-line block ×3, first 2 shown]
	global_load_dwordx2 v[26:27], v[36:37], off
	global_load_dwordx2 v[14:15], v[38:39], off
	;; [unrolled: 1-line block ×4, first 2 shown]
	s_waitcnt vmcnt(3)
	v_add_f64 v[18:19], v[18:19], -v[26:27]
	s_waitcnt vmcnt(2)
	v_add_f64 v[36:37], v[26:27], -v[14:15]
	;; [unrolled: 2-line block ×3, first 2 shown]
	v_mul_f64 v[18:19], v[18:19], s[0:1]
	v_mul_f64 v[36:37], v[36:37], s[0:1]
	v_fma_f64 v[36:37], v[38:39], s[2:3], v[36:37]
	v_mul_f64 v[38:39], v[22:23], v[54:55]
	buffer_store_dword v38, off, s[36:39], 0 offset:112 ; 4-byte Folded Spill
	s_nop 0
	buffer_store_dword v39, off, s[36:39], 0 offset:116 ; 4-byte Folded Spill
	buffer_store_dword v0, off, s[36:39], 0 offset:592 ; 4-byte Folded Spill
	s_nop 0
	buffer_store_dword v1, off, s[36:39], 0 offset:596 ; 4-byte Folded Spill
	v_mul_f64 v[22:23], v[40:41], v[32:33]
	v_mul_f64 v[32:33], v[38:39], v[36:37]
	;; [unrolled: 1-line block ×3, first 2 shown]
	v_fma_f64 v[22:23], v[0:1], v[32:33], v[22:23]
	v_mov_b32_e32 v33, s17
	v_add_f64 v[22:23], v[28:29], -v[22:23]
	buffer_load_dword v28, off, s[36:39], 0 offset:424 ; 4-byte Folded Reload
	buffer_load_dword v29, off, s[36:39], 0 offset:428 ; 4-byte Folded Reload
	v_mul_f64 v[22:23], v[22:23], s[0:1]
	s_waitcnt vmcnt(0)
	v_div_fixup_f64 v[28:29], v[28:29], v[40:41], 1.0
	buffer_store_dword v28, off, s[36:39], 0 offset:64 ; 4-byte Folded Spill
	s_nop 0
	buffer_store_dword v29, off, s[36:39], 0 offset:68 ; 4-byte Folded Spill
	v_mul_f64 v[28:29], v[28:29], v[0:1]
	v_fma_f64 v[0:1], v[28:29], v[30:31], v[22:23]
	buffer_store_dword v0, off, s[36:39], 0 offset:424 ; 4-byte Folded Spill
	s_nop 0
	buffer_store_dword v1, off, s[36:39], 0 offset:428 ; 4-byte Folded Spill
	buffer_load_dword v54, off, s[36:39], 0 offset:620 ; 4-byte Folded Reload
	buffer_load_dword v55, off, s[36:39], 0 offset:600 ; 4-byte Folded Reload
	v_mov_b32_e32 v30, s17
	s_waitcnt vmcnt(1)
	v_add3_u32 v22, v54, v35, s4
	v_ashrrev_i32_e32 v23, 31, v22
	v_lshlrev_b64 v[28:29], 3, v[22:23]
	v_add_u32_e32 v22, s6, v22
	v_ashrrev_i32_e32 v23, 31, v22
	v_add_co_u32_e32 v28, vcc, s16, v28
	v_lshlrev_b64 v[22:23], 3, v[22:23]
	v_addc_co_u32_e32 v29, vcc, v30, v29, vcc
	v_add_co_u32_e32 v22, vcc, s16, v22
	v_addc_co_u32_e32 v23, vcc, v30, v23, vcc
	s_waitcnt vmcnt(0)
	v_add3_u32 v30, v55, v35, s4
	v_ashrrev_i32_e32 v31, 31, v30
	v_lshlrev_b64 v[31:32], 3, v[30:31]
	v_add_u32_e32 v36, s6, v30
	v_ashrrev_i32_e32 v37, 31, v36
	v_add_co_u32_e32 v31, vcc, s16, v31
	v_lshlrev_b64 v[36:37], 3, v[36:37]
	v_addc_co_u32_e32 v32, vcc, v33, v32, vcc
	v_mov_b32_e32 v30, s17
	v_add_co_u32_e32 v36, vcc, s16, v36
	v_addc_co_u32_e32 v37, vcc, v30, v37, vcc
	buffer_load_dword v30, off, s[36:39], 0 offset:504 ; 4-byte Folded Reload
	v_mov_b32_e32 v35, v55
	s_waitcnt vmcnt(0)
	v_add_u32_e32 v38, s7, v30
	v_ashrrev_i32_e32 v39, 31, v38
	v_lshlrev_b64 v[46:47], 3, v[38:39]
	v_subrev_u32_e32 v38, s6, v38
	v_ashrrev_i32_e32 v39, 31, v38
	v_mov_b32_e32 v30, s23
	v_add_co_u32_e32 v46, vcc, s22, v46
	v_lshlrev_b64 v[38:39], 3, v[38:39]
	v_addc_co_u32_e32 v47, vcc, v30, v47, vcc
	v_add_co_u32_e32 v38, vcc, s22, v38
	v_addc_co_u32_e32 v39, vcc, v30, v39, vcc
	global_load_dwordx2 v[46:47], v[46:47], off
	s_nop 0
	global_load_dwordx2 v[38:39], v[38:39], off
	s_nop 0
	buffer_load_dword v52, off, s[36:39], 0 offset:496 ; 4-byte Folded Reload
	buffer_load_dword v53, off, s[36:39], 0 offset:500 ; 4-byte Folded Reload
	s_waitcnt vmcnt(0)
	v_mul_f64 v[46:47], v[52:53], v[46:47]
	v_mul_f64 v[38:39], v[52:53], v[38:39]
	v_add_f64 v[52:53], v[16:17], -v[20:21]
	global_load_dwordx2 v[20:21], v[22:23], off
	global_load_dwordx2 v[16:17], v[36:37], off
	v_mul_f64 v[22:23], v[52:53], s[0:1]
	buffer_load_dword v52, off, s[36:39], 0 offset:480 ; 4-byte Folded Reload
	buffer_load_dword v53, off, s[36:39], 0 offset:484 ; 4-byte Folded Reload
	global_load_dwordx2 v[0:1], v[28:29], off
	s_waitcnt vmcnt(0)
	buffer_store_dword v0, off, s[36:39], 0 offset:496 ; 4-byte Folded Spill
	s_nop 0
	buffer_store_dword v1, off, s[36:39], 0 offset:500 ; 4-byte Folded Spill
	global_load_dwordx2 v[26:27], v[31:32], off
	s_waitcnt vmcnt(0)
	buffer_store_dword v26, off, s[36:39], 0 offset:504 ; 4-byte Folded Spill
	s_nop 0
	buffer_store_dword v27, off, s[36:39], 0 offset:508 ; 4-byte Folded Spill
	v_add_f64 v[36:37], v[20:21], -v[16:17]
	v_mov_b32_e32 v29, s17
	v_fma_f64 v[22:23], v[36:37], s[2:3], v[22:23]
	v_mul_f64 v[36:37], v[52:53], v[38:39]
	v_mul_f64 v[38:39], v[52:53], v[46:47]
	v_mul_f64 v[22:23], v[22:23], v[36:37]
	v_add_f64 v[26:27], v[0:1], -v[26:27]
	v_fma_f64 v[18:19], v[26:27], s[2:3], v[18:19]
	buffer_load_dword v26, off, s[36:39], 0 offset:488 ; 4-byte Folded Reload
	buffer_load_dword v27, off, s[36:39], 0 offset:492 ; 4-byte Folded Reload
	s_waitcnt vmcnt(0)
	v_mul_f64 v[22:23], v[26:27], v[22:23]
	v_mov_b32_e32 v26, s17
	v_fma_f64 v[0:1], v[18:19], v[38:39], v[22:23]
	v_add3_u32 v18, v54, v34, s4
	v_ashrrev_i32_e32 v19, 31, v18
	v_lshlrev_b64 v[22:23], 3, v[18:19]
	v_add_u32_e32 v18, s6, v18
	v_ashrrev_i32_e32 v19, 31, v18
	v_add_co_u32_e32 v22, vcc, s16, v22
	v_lshlrev_b64 v[18:19], 3, v[18:19]
	v_addc_co_u32_e32 v23, vcc, v26, v23, vcc
	v_add_co_u32_e32 v18, vcc, s16, v18
	v_addc_co_u32_e32 v19, vcc, v26, v19, vcc
	v_add3_u32 v26, v35, v34, s4
	v_ashrrev_i32_e32 v27, 31, v26
	v_lshlrev_b64 v[27:28], 3, v[26:27]
	buffer_store_dword v0, off, s[36:39], 0 offset:480 ; 4-byte Folded Spill
	s_nop 0
	buffer_store_dword v1, off, s[36:39], 0 offset:484 ; 4-byte Folded Spill
	v_add_co_u32_e32 v27, vcc, s16, v27
	v_addc_co_u32_e32 v28, vcc, v29, v28, vcc
	v_add_u32_e32 v29, s6, v26
	v_ashrrev_i32_e32 v30, 31, v29
	v_lshlrev_b64 v[29:30], 3, v[29:30]
	v_mov_b32_e32 v26, s17
	v_add_co_u32_e32 v29, vcc, s16, v29
	v_addc_co_u32_e32 v30, vcc, v26, v30, vcc
	buffer_load_dword v26, off, s[36:39], 0 offset:400 ; 4-byte Folded Reload
	v_add_f64 v[0:1], v[4:5], -v[14:15]
	v_mul_f64 v[0:1], v[0:1], s[0:1]
	s_waitcnt vmcnt(0)
	v_add_u32_e32 v31, s7, v26
	v_ashrrev_i32_e32 v32, 31, v31
	v_lshlrev_b64 v[32:33], 3, v[31:32]
	v_subrev_u32_e32 v36, s6, v31
	v_ashrrev_i32_e32 v37, 31, v36
	v_mov_b32_e32 v26, s23
	v_add_co_u32_e32 v32, vcc, s22, v32
	v_lshlrev_b64 v[36:37], 3, v[36:37]
	v_addc_co_u32_e32 v33, vcc, v26, v33, vcc
	v_add_co_u32_e32 v36, vcc, s22, v36
	v_addc_co_u32_e32 v37, vcc, v26, v37, vcc
	global_load_dwordx2 v[31:32], v[32:33], off
	s_nop 0
	global_load_dwordx2 v[36:37], v[36:37], off
	s_nop 0
	buffer_load_dword v33, off, s[36:39], 0 offset:416 ; 4-byte Folded Reload
	buffer_load_dword v34, off, s[36:39], 0 offset:420 ; 4-byte Folded Reload
	s_nop 0
	global_load_dwordx2 v[18:19], v[18:19], off
	s_nop 0
	global_load_dwordx2 v[29:30], v[29:30], off
	s_waitcnt vmcnt(2)
	v_mul_f64 v[31:32], v[33:34], v[31:32]
	v_mul_f64 v[36:37], v[33:34], v[36:37]
	buffer_load_dword v33, off, s[36:39], 0 offset:408 ; 4-byte Folded Reload
	buffer_load_dword v34, off, s[36:39], 0 offset:412 ; 4-byte Folded Reload
	global_load_dwordx2 v[4:5], v[22:23], off
	s_waitcnt vmcnt(3)
	v_add_f64 v[12:13], v[18:19], -v[29:30]
	s_waitcnt vmcnt(0)
	buffer_store_dword v4, off, s[36:39], 0 offset:408 ; 4-byte Folded Spill
	s_nop 0
	buffer_store_dword v5, off, s[36:39], 0 offset:412 ; 4-byte Folded Spill
	v_fma_f64 v[2:3], v[12:13], s[2:3], v[2:3]
	v_mul_f64 v[12:13], v[33:34], v[36:37]
	v_mul_f64 v[31:32], v[33:34], v[31:32]
	v_mov_b32_e32 v23, s17
	v_add_f64 v[18:19], v[20:21], -v[18:19]
	v_add_f64 v[16:17], v[16:17], -v[29:30]
	v_mov_b32_e32 v33, s23
	v_mul_f64 v[2:3], v[2:3], v[12:13]
	global_load_dwordx2 v[12:13], v[27:28], off
	s_waitcnt vmcnt(0)
	buffer_store_dword v12, off, s[36:39], 0 offset:416 ; 4-byte Folded Spill
	s_nop 0
	buffer_store_dword v13, off, s[36:39], 0 offset:420 ; 4-byte Folded Spill
	buffer_load_dword v58, off, s[36:39], 0 offset:464 ; 4-byte Folded Reload
	buffer_load_dword v59, off, s[36:39], 0 offset:468 ; 4-byte Folded Reload
	;; [unrolled: 1-line block ×4, first 2 shown]
	v_mov_b32_e32 v28, v48
	v_mov_b32_e32 v48, v55
	v_mul_f64 v[18:19], v[18:19], s[0:1]
	v_mul_f64 v[16:17], v[16:17], s[0:1]
	v_add_f64 v[12:13], v[4:5], -v[12:13]
	s_waitcnt vmcnt(2)
	v_mul_f64 v[2:3], v[58:59], v[2:3]
	v_fma_f64 v[0:1], v[12:13], s[2:3], v[0:1]
	v_fma_f64 v[0:1], v[0:1], v[31:32], v[2:3]
	buffer_store_dword v0, off, s[36:39], 0 offset:400 ; 4-byte Folded Spill
	s_nop 0
	buffer_store_dword v1, off, s[36:39], 0 offset:404 ; 4-byte Folded Spill
	buffer_load_dword v2, off, s[36:39], 0 offset:612 ; 4-byte Folded Reload
	buffer_load_dword v3, off, s[36:39], 0 offset:616 ; 4-byte Folded Reload
	;; [unrolled: 1-line block ×4, first 2 shown]
	v_add3_u32 v1, v54, v49, s4
	v_add_u32_e32 v12, s6, v1
	v_ashrrev_i32_e32 v13, 31, v12
	v_mov_b32_e32 v0, s23
	v_lshlrev_b64 v[12:13], 3, v[12:13]
	s_waitcnt vmcnt(3)
	v_add_co_u32_e32 v2, vcc, s22, v2
	s_waitcnt vmcnt(2)
	v_addc_co_u32_e32 v3, vcc, v0, v3, vcc
	v_mov_b32_e32 v0, s17
	v_add_co_u32_e32 v14, vcc, s16, v12
	v_addc_co_u32_e32 v15, vcc, v0, v13, vcc
	v_add3_u32 v0, v54, v28, s4
	v_add_u32_e32 v12, s6, v0
	v_ashrrev_i32_e32 v13, 31, v12
	v_lshlrev_b64 v[12:13], 3, v[12:13]
	v_add_co_u32_e32 v22, vcc, s16, v12
	v_addc_co_u32_e32 v23, vcc, v23, v13, vcc
	v_add3_u32 v13, v48, v49, s4
	v_add_u32_e32 v31, s6, v13
	v_ashrrev_i32_e32 v32, 31, v31
	v_mov_b32_e32 v12, s23
	s_waitcnt vmcnt(1)
	v_add_co_u32_e32 v26, vcc, s22, v4
	v_lshlrev_b64 v[31:32], 3, v[31:32]
	s_waitcnt vmcnt(0)
	v_addc_co_u32_e32 v27, vcc, v12, v5, vcc
	v_mov_b32_e32 v12, s17
	v_add_co_u32_e32 v31, vcc, s16, v31
	v_addc_co_u32_e32 v32, vcc, v12, v32, vcc
	v_add3_u32 v12, v48, v28, s4
	v_add_u32_e32 v36, s6, v12
	v_ashrrev_i32_e32 v37, 31, v36
	v_lshlrev_b64 v[36:37], 3, v[36:37]
	v_mov_b32_e32 v28, s17
	v_add_co_u32_e32 v36, vcc, s16, v36
	v_addc_co_u32_e32 v37, vcc, v28, v37, vcc
	buffer_load_dword v28, off, s[36:39], 0 offset:360 ; 4-byte Folded Reload
	s_nop 0
	global_load_dwordx2 v[14:15], v[14:15], off
	s_nop 0
	global_load_dwordx2 v[20:21], v[22:23], off
	global_load_dwordx2 v[4:5], v[2:3], off
	s_waitcnt vmcnt(0)
	buffer_store_dword v4, off, s[36:39], 0 offset:440 ; 4-byte Folded Spill
	s_nop 0
	buffer_store_dword v5, off, s[36:39], 0 offset:444 ; 4-byte Folded Spill
	v_add_f64 v[22:23], v[14:15], -v[20:21]
	v_add_u32_e32 v28, s7, v28
	v_subrev_u32_e32 v38, s6, v28
	v_ashrrev_i32_e32 v39, 31, v38
	v_lshlrev_b64 v[38:39], 3, v[38:39]
	v_add_co_u32_e32 v38, vcc, s22, v38
	v_fma_f64 v[18:19], v[22:23], s[2:3], v[18:19]
	buffer_load_dword v2, off, s[36:39], 0 offset:24 ; 4-byte Folded Reload
	buffer_load_dword v3, off, s[36:39], 0 offset:28 ; 4-byte Folded Reload
	;; [unrolled: 1-line block ×4, first 2 shown]
	v_addc_co_u32_e32 v39, vcc, v33, v39, vcc
	s_waitcnt vmcnt(0)
	v_mul_f64 v[2:3], v[2:3], v[22:23]
	v_mul_f64 v[2:3], v[2:3], v[4:5]
	v_mul_f64 v[2:3], v[2:3], v[18:19]
	global_load_dwordx2 v[18:19], v[31:32], off
	global_load_dwordx2 v[22:23], v[36:37], off
	;; [unrolled: 1-line block ×3, first 2 shown]
	s_waitcnt vmcnt(0)
	buffer_store_dword v4, off, s[36:39], 0 offset:104 ; 4-byte Folded Spill
	s_nop 0
	buffer_store_dword v5, off, s[36:39], 0 offset:108 ; 4-byte Folded Spill
	buffer_load_dword v10, off, s[36:39], 0 offset:16 ; 4-byte Folded Reload
	buffer_load_dword v11, off, s[36:39], 0 offset:20 ; 4-byte Folded Reload
	;; [unrolled: 1-line block ×4, first 2 shown]
	v_add_f64 v[29:30], v[18:19], -v[22:23]
	v_add_f64 v[14:15], v[14:15], -v[18:19]
	v_mul_f64 v[2:3], v[40:41], v[2:3]
	v_fma_f64 v[16:17], v[29:30], s[2:3], v[16:17]
	v_fma_f64 v[8:9], v[14:15], s[2:3], v[8:9]
	global_load_dwordx2 v[14:15], v[38:39], off
	v_ashrrev_i32_e32 v29, 31, v28
	s_waitcnt vmcnt(1)
	v_mul_f64 v[10:11], v[10:11], v[26:27]
	v_mul_f64 v[10:11], v[10:11], v[4:5]
	v_mov_b32_e32 v5, s17
	v_mul_f64 v[10:11], v[10:11], v[16:17]
	buffer_load_dword v16, off, s[36:39], 0 offset:384 ; 4-byte Folded Reload
	buffer_load_dword v17, off, s[36:39], 0 offset:388 ; 4-byte Folded Reload
	;; [unrolled: 1-line block ×4, first 2 shown]
	s_nop 0
	buffer_store_dword v2, off, s[36:39], 0 offset:360 ; 4-byte Folded Spill
	s_nop 0
	buffer_store_dword v3, off, s[36:39], 0 offset:364 ; 4-byte Folded Spill
	v_mul_f64 v[2:3], v[40:41], v[10:11]
	buffer_store_dword v2, off, s[36:39], 0 offset:96 ; 4-byte Folded Spill
	s_nop 0
	buffer_store_dword v3, off, s[36:39], 0 offset:100 ; 4-byte Folded Spill
	v_ashrrev_i32_e32 v2, 31, v1
	v_lshlrev_b64 v[1:2], 3, v[1:2]
	v_mov_b32_e32 v3, s17
	v_add_co_u32_e32 v1, vcc, s16, v1
	v_addc_co_u32_e32 v2, vcc, v3, v2, vcc
	s_waitcnt vmcnt(6)
	v_mul_f64 v[14:15], v[16:17], v[14:15]
	s_waitcnt vmcnt(4)
	v_mul_f64 v[14:15], v[18:19], v[14:15]
	v_mul_f64 v[8:9], v[8:9], v[14:15]
	v_ashrrev_i32_e32 v14, 31, v13
	v_lshlrev_b64 v[10:11], 3, v[13:14]
	v_lshlrev_b64 v[13:14], 3, v[28:29]
	v_add_co_u32_e32 v10, vcc, s16, v10
	v_addc_co_u32_e32 v11, vcc, v3, v11, vcc
	v_mov_b32_e32 v3, s23
	v_add_co_u32_e32 v13, vcc, s22, v13
	v_addc_co_u32_e32 v14, vcc, v3, v14, vcc
	global_load_dwordx2 v[13:14], v[13:14], off
	v_add_f64 v[3:4], v[44:45], -v[24:25]
	v_mul_f64 v[8:9], v[42:43], v[8:9]
	s_waitcnt vmcnt(0)
	v_mul_f64 v[13:14], v[16:17], v[13:14]
	global_load_dwordx2 v[15:16], v[1:2], off
	s_waitcnt vmcnt(0)
	buffer_store_dword v15, off, s[36:39], 0 offset:448 ; 4-byte Folded Spill
	s_nop 0
	buffer_store_dword v16, off, s[36:39], 0 offset:452 ; 4-byte Folded Spill
	global_load_dwordx2 v[10:11], v[10:11], off
	s_waitcnt vmcnt(0)
	buffer_store_dword v10, off, s[36:39], 0 offset:392 ; 4-byte Folded Spill
	s_nop 0
	buffer_store_dword v11, off, s[36:39], 0 offset:396 ; 4-byte Folded Spill
	v_mul_f64 v[1:2], v[3:4], s[0:1]
	v_mul_f64 v[13:14], v[18:19], v[13:14]
	v_add_f64 v[3:4], v[15:16], -v[10:11]
	v_add_f64 v[10:11], v[20:21], -v[22:23]
	v_fma_f64 v[1:2], v[3:4], s[2:3], v[1:2]
	v_mov_b32_e32 v3, s23
	v_fma_f64 v[1:2], v[1:2], v[13:14], v[8:9]
	buffer_store_dword v1, off, s[36:39], 0 offset:384 ; 4-byte Folded Spill
	s_nop 0
	buffer_store_dword v2, off, s[36:39], 0 offset:388 ; 4-byte Folded Spill
	buffer_load_dword v1, off, s[36:39], 0 offset:320 ; 4-byte Folded Reload
	v_add_f64 v[8:9], v[56:57], -v[50:51]
	v_ashrrev_i32_e32 v13, 31, v12
	v_mul_f64 v[8:9], v[8:9], s[0:1]
	v_fma_f64 v[8:9], v[10:11], s[2:3], v[8:9]
	s_waitcnt vmcnt(0)
	v_add_u32_e32 v4, s7, v1
	v_subrev_u32_e32 v1, s6, v4
	v_ashrrev_i32_e32 v2, 31, v1
	v_lshlrev_b64 v[1:2], 3, v[1:2]
	v_add_co_u32_e32 v1, vcc, s22, v1
	v_addc_co_u32_e32 v2, vcc, v3, v2, vcc
	global_load_dwordx2 v[1:2], v[1:2], off
	s_nop 0
	buffer_load_dword v14, off, s[36:39], 0 offset:328 ; 4-byte Folded Reload
	buffer_load_dword v15, off, s[36:39], 0 offset:332 ; 4-byte Folded Reload
	;; [unrolled: 1-line block ×4, first 2 shown]
	s_waitcnt vmcnt(2)
	v_mul_f64 v[1:2], v[14:15], v[1:2]
	s_waitcnt vmcnt(0)
	v_mul_f64 v[1:2], v[16:17], v[1:2]
	v_mul_f64 v[1:2], v[8:9], v[1:2]
	;; [unrolled: 1-line block ×3, first 2 shown]
	v_ashrrev_i32_e32 v1, 31, v0
	v_lshlrev_b64 v[0:1], 3, v[0:1]
	v_add_co_u32_e32 v8, vcc, s16, v0
	v_addc_co_u32_e32 v9, vcc, v5, v1, vcc
	v_lshlrev_b64 v[0:1], 3, v[12:13]
	v_add_co_u32_e32 v10, vcc, s16, v0
	v_addc_co_u32_e32 v11, vcc, v5, v1, vcc
	v_ashrrev_i32_e32 v5, 31, v4
	v_lshlrev_b64 v[0:1], 3, v[4:5]
	v_mov_b32_e32 v4, s23
	v_add_co_u32_e32 v0, vcc, s22, v0
	v_addc_co_u32_e32 v1, vcc, v4, v1, vcc
	global_load_dwordx2 v[0:1], v[0:1], off
	s_nop 0
	buffer_load_dword v4, off, s[36:39], 0 offset:640 ; 4-byte Folded Reload
	buffer_load_dword v5, off, s[36:39], 0 offset:644 ; 4-byte Folded Reload
	s_waitcnt vmcnt(2)
	v_mul_f64 v[0:1], v[14:15], v[0:1]
	s_waitcnt vmcnt(0)
	v_add_f64 v[4:5], v[4:5], -v[6:7]
	global_load_dwordx2 v[62:63], v[8:9], off
	global_load_dwordx2 v[6:7], v[10:11], off
	s_waitcnt vmcnt(0)
	buffer_store_dword v6, off, s[36:39], 0 offset:328 ; 4-byte Folded Spill
	s_nop 0
	buffer_store_dword v7, off, s[36:39], 0 offset:332 ; 4-byte Folded Spill
	v_mul_f64 v[4:5], v[4:5], s[0:1]
	v_mul_f64 v[0:1], v[16:17], v[0:1]
	v_mov_b32_e32 v8, s17
	v_mov_b32_e32 v10, s17
	;; [unrolled: 1-line block ×4, first 2 shown]
	v_add_f64 v[6:7], v[62:63], -v[6:7]
	v_fma_f64 v[4:5], v[6:7], s[2:3], v[4:5]
	v_fma_f64 v[0:1], v[4:5], v[0:1], v[2:3]
	buffer_store_dword v0, off, s[36:39], 0 offset:320 ; 4-byte Folded Spill
	s_nop 0
	buffer_store_dword v1, off, s[36:39], 0 offset:324 ; 4-byte Folded Spill
	buffer_load_dword v6, off, s[36:39], 0 offset:560 ; 4-byte Folded Reload
	buffer_load_dword v16, off, s[36:39], 0 offset:88 ; 4-byte Folded Reload
	;; [unrolled: 1-line block ×5, first 2 shown]
	v_mov_b32_e32 v2, s17
	v_mov_b32_e32 v4, s17
	;; [unrolled: 1-line block ×3, first 2 shown]
	s_waitcnt vmcnt(4)
	v_mov_b32_e32 v9, v6
	s_waitcnt vmcnt(3)
	v_add3_u32 v22, v6, v16, s5
	v_ashrrev_i32_e32 v23, 31, v22
	v_lshlrev_b64 v[0:1], 3, v[22:23]
	v_add_co_u32_e32 v50, vcc, s16, v0
	v_subrev_u32_e32 v0, s4, v22
	v_addc_co_u32_e32 v51, vcc, v2, v1, vcc
	v_ashrrev_i32_e32 v1, 31, v0
	v_lshlrev_b64 v[0:1], 3, v[0:1]
	v_add_co_u32_e32 v22, vcc, s16, v0
	s_waitcnt vmcnt(2)
	v_add3_u32 v0, v6, v17, s5
	v_addc_co_u32_e32 v23, vcc, v2, v1, vcc
	v_ashrrev_i32_e32 v1, 31, v0
	v_lshlrev_b64 v[2:3], 3, v[0:1]
	v_subrev_u32_e32 v0, s4, v0
	v_ashrrev_i32_e32 v1, 31, v0
	v_add_co_u32_e32 v2, vcc, s16, v2
	v_lshlrev_b64 v[0:1], 3, v[0:1]
	v_addc_co_u32_e32 v3, vcc, v4, v3, vcc
	v_add_co_u32_e32 v4, vcc, s16, v0
	v_add3_u32 v0, v6, v54, s5
	v_addc_co_u32_e32 v5, vcc, v5, v1, vcc
	v_ashrrev_i32_e32 v1, 31, v0
	v_lshlrev_b64 v[6:7], 3, v[0:1]
	v_subrev_u32_e32 v0, s4, v0
	v_ashrrev_i32_e32 v1, 31, v0
	v_add_co_u32_e32 v36, vcc, s16, v6
	v_lshlrev_b64 v[0:1], 3, v[0:1]
	v_addc_co_u32_e32 v37, vcc, v8, v7, vcc
	v_add3_u32 v8, v9, v48, s5
	v_mov_b32_e32 v6, s17
	v_add_co_u32_e32 v0, vcc, s16, v0
	v_ashrrev_i32_e32 v9, 31, v8
	v_addc_co_u32_e32 v1, vcc, v6, v1, vcc
	v_lshlrev_b64 v[6:7], 3, v[8:9]
	v_subrev_u32_e32 v8, s4, v8
	v_ashrrev_i32_e32 v9, 31, v8
	v_add_co_u32_e32 v6, vcc, s16, v6
	v_lshlrev_b64 v[8:9], 3, v[8:9]
	v_addc_co_u32_e32 v7, vcc, v10, v7, vcc
	v_add_co_u32_e32 v8, vcc, s16, v8
	v_addc_co_u32_e32 v9, vcc, v10, v9, vcc
	s_waitcnt vmcnt(1)
	v_add_co_u32_e32 v10, vcc, s22, v12
	buffer_load_dword v12, off, s[36:39], 0 offset:288 ; 4-byte Folded Reload
	s_waitcnt vmcnt(1)
	v_addc_co_u32_e32 v11, vcc, v11, v13, vcc
	s_waitcnt vmcnt(0)
	v_add_u32_e32 v12, s7, v12
	v_ashrrev_i32_e32 v13, 31, v12
	v_lshlrev_b64 v[12:13], 3, v[12:13]
	v_add_co_u32_e32 v12, vcc, s22, v12
	v_addc_co_u32_e32 v13, vcc, v14, v13, vcc
	global_load_dwordx2 v[10:11], v[10:11], off
	s_nop 0
	global_load_dwordx2 v[12:13], v[12:13], off
	s_nop 0
	buffer_load_dword v14, off, s[36:39], 0 offset:296 ; 4-byte Folded Reload
	buffer_load_dword v15, off, s[36:39], 0 offset:300 ; 4-byte Folded Reload
	global_load_dwordx2 v[18:19], v[50:51], off
	s_waitcnt vmcnt(0)
	buffer_store_dword v18, off, s[36:39], 0 offset:488 ; 4-byte Folded Spill
	s_nop 0
	buffer_store_dword v19, off, s[36:39], 0 offset:492 ; 4-byte Folded Spill
	global_load_dwordx2 v[2:3], v[2:3], off
	s_waitcnt vmcnt(0)
	buffer_store_dword v2, off, s[36:39], 0 offset:456 ; 4-byte Folded Spill
	s_nop 0
	buffer_store_dword v3, off, s[36:39], 0 offset:460 ; 4-byte Folded Spill
	v_mul_f64 v[10:11], v[14:15], v[10:11]
	v_mul_f64 v[12:13], v[14:15], v[12:13]
	global_load_dwordx2 v[14:15], v[36:37], off
	s_waitcnt vmcnt(0)
	buffer_store_dword v14, off, s[36:39], 0 offset:312 ; 4-byte Folded Spill
	s_nop 0
	buffer_store_dword v15, off, s[36:39], 0 offset:316 ; 4-byte Folded Spill
	global_load_dwordx2 v[6:7], v[6:7], off
	s_waitcnt vmcnt(0)
	buffer_store_dword v6, off, s[36:39], 0 offset:296 ; 4-byte Folded Spill
	s_nop 0
	buffer_store_dword v7, off, s[36:39], 0 offset:300 ; 4-byte Folded Spill
	v_add_f64 v[2:3], v[18:19], -v[2:3]
	v_mul_f64 v[2:3], v[2:3], s[0:1]
	v_add_f64 v[6:7], v[14:15], -v[6:7]
	buffer_load_dword v14, off, s[36:39], 0 offset:280 ; 4-byte Folded Reload
	buffer_load_dword v15, off, s[36:39], 0 offset:284 ; 4-byte Folded Reload
	global_load_dwordx2 v[18:19], v[22:23], off
	s_waitcnt vmcnt(0)
	buffer_store_dword v18, off, s[36:39], 0 offset:560 ; 4-byte Folded Spill
	s_nop 0
	buffer_store_dword v19, off, s[36:39], 0 offset:564 ; 4-byte Folded Spill
	v_fma_f64 v[2:3], v[6:7], s[2:3], v[2:3]
	v_mul_f64 v[6:7], v[14:15], v[10:11]
	v_mul_f64 v[10:11], v[14:15], v[12:13]
	global_load_dwordx2 v[14:15], v[4:5], off
	s_waitcnt vmcnt(0)
	buffer_store_dword v14, off, s[36:39], 0 offset:464 ; 4-byte Folded Spill
	s_nop 0
	buffer_store_dword v15, off, s[36:39], 0 offset:468 ; 4-byte Folded Spill
	global_load_dwordx2 v[12:13], v[0:1], off
	s_waitcnt vmcnt(0)
	buffer_store_dword v12, off, s[36:39], 0 offset:336 ; 4-byte Folded Spill
	s_nop 0
	buffer_store_dword v13, off, s[36:39], 0 offset:340 ; 4-byte Folded Spill
	;; [unrolled: 5-line block ×3, first 2 shown]
	v_add_f64 v[0:1], v[18:19], -v[14:15]
	v_mul_f64 v[2:3], v[2:3], v[6:7]
	v_mul_f64 v[0:1], v[0:1], s[0:1]
	v_add_f64 v[4:5], v[12:13], -v[4:5]
	v_fma_f64 v[0:1], v[4:5], s[2:3], v[0:1]
	buffer_load_dword v4, off, s[36:39], 0 offset:304 ; 4-byte Folded Reload
	buffer_load_dword v5, off, s[36:39], 0 offset:308 ; 4-byte Folded Reload
	v_mul_f64 v[0:1], v[0:1], v[10:11]
	s_waitcnt vmcnt(0)
	v_fma_f64 v[0:1], v[4:5], v[2:3], v[0:1]
	buffer_store_dword v0, off, s[36:39], 0 offset:280 ; 4-byte Folded Spill
	s_nop 0
	buffer_store_dword v1, off, s[36:39], 0 offset:284 ; 4-byte Folded Spill
	buffer_load_dword v8, off, s[36:39], 0 offset:208 ; 4-byte Folded Reload
	buffer_load_dword v12, off, s[36:39], 0 offset:224 ; 4-byte Folded Reload
	buffer_load_dword v11, off, s[36:39], 0 offset:216 ; 4-byte Folded Reload
	v_mov_b32_e32 v4, v16
	v_mov_b32_e32 v3, s17
	;; [unrolled: 1-line block ×3, first 2 shown]
	s_waitcnt vmcnt(2)
	v_add3_u32 v0, v8, v4, s5
	v_ashrrev_i32_e32 v1, 31, v0
	v_lshlrev_b64 v[1:2], 3, v[0:1]
	v_mov_b32_e32 v10, v8
	v_add_co_u32_e32 v56, vcc, s16, v1
	s_waitcnt vmcnt(1)
	v_add3_u32 v1, v12, v4, s5
	v_addc_co_u32_e32 v57, vcc, v3, v2, vcc
	v_ashrrev_i32_e32 v2, 31, v1
	v_lshlrev_b64 v[2:3], 3, v[1:2]
	v_mov_b32_e32 v4, s17
	v_add_co_u32_e32 v58, vcc, s16, v2
	s_waitcnt vmcnt(0)
	v_add3_u32 v2, v11, v5, s5
	v_addc_co_u32_e32 v59, vcc, v4, v3, vcc
	v_ashrrev_i32_e32 v3, 31, v2
	v_lshlrev_b64 v[3:4], 3, v[2:3]
	v_mov_b32_e32 v5, s17
	v_add_co_u32_e32 v50, vcc, s16, v3
	v_subrev_u32_e32 v3, s4, v0
	v_addc_co_u32_e32 v51, vcc, v5, v4, vcc
	v_ashrrev_i32_e32 v4, 31, v3
	v_lshlrev_b64 v[3:4], 3, v[3:4]
	v_mov_b32_e32 v0, s17
	v_add_co_u32_e32 v6, vcc, s16, v3
	v_addc_co_u32_e32 v7, vcc, v0, v4, vcc
	v_subrev_u32_e32 v0, s4, v1
	v_ashrrev_i32_e32 v1, 31, v0
	v_lshlrev_b64 v[0:1], 3, v[0:1]
	v_mov_b32_e32 v3, s17
	v_add_co_u32_e32 v38, vcc, s16, v0
	v_subrev_u32_e32 v0, s4, v2
	v_addc_co_u32_e32 v39, vcc, v3, v1, vcc
	v_ashrrev_i32_e32 v1, 31, v0
	v_lshlrev_b64 v[0:1], 3, v[0:1]
	v_mov_b32_e32 v4, v17
	v_mov_b32_e32 v2, s17
	v_add_co_u32_e32 v34, vcc, s16, v0
	v_add3_u32 v0, v8, v4, s5
	v_addc_co_u32_e32 v35, vcc, v2, v1, vcc
	v_ashrrev_i32_e32 v1, 31, v0
	v_lshlrev_b64 v[1:2], 3, v[0:1]
	v_mov_b32_e32 v5, v17
	v_add_co_u32_e32 v46, vcc, s16, v1
	v_add3_u32 v1, v12, v4, s5
	v_addc_co_u32_e32 v47, vcc, v3, v2, vcc
	v_ashrrev_i32_e32 v2, 31, v1
	v_lshlrev_b64 v[2:3], 3, v[1:2]
	;; [unrolled: 6-line block ×3, first 2 shown]
	v_mov_b32_e32 v5, s17
	v_add_co_u32_e32 v32, vcc, s16, v3
	v_subrev_u32_e32 v3, s4, v0
	v_addc_co_u32_e32 v33, vcc, v5, v4, vcc
	v_ashrrev_i32_e32 v4, 31, v3
	v_lshlrev_b64 v[3:4], 3, v[3:4]
	v_mov_b32_e32 v0, s17
	v_add_co_u32_e32 v40, vcc, s16, v3
	v_addc_co_u32_e32 v41, vcc, v0, v4, vcc
	v_subrev_u32_e32 v0, s4, v1
	v_ashrrev_i32_e32 v1, 31, v0
	v_lshlrev_b64 v[0:1], 3, v[0:1]
	v_mov_b32_e32 v3, s17
	v_add_co_u32_e32 v28, vcc, s16, v0
	v_subrev_u32_e32 v0, s4, v2
	v_addc_co_u32_e32 v29, vcc, v3, v1, vcc
	v_ashrrev_i32_e32 v1, 31, v0
	v_lshlrev_b64 v[0:1], 3, v[0:1]
	v_mov_b32_e32 v4, v54
	v_mov_b32_e32 v2, s17
	v_add_co_u32_e32 v24, vcc, s16, v0
	v_add3_u32 v0, v10, v4, s5
	v_addc_co_u32_e32 v25, vcc, v2, v1, vcc
	v_ashrrev_i32_e32 v1, 31, v0
	v_lshlrev_b64 v[1:2], 3, v[0:1]
	v_mov_b32_e32 v5, v54
	v_add_co_u32_e32 v1, vcc, s16, v1
	v_addc_co_u32_e32 v2, vcc, v3, v2, vcc
	buffer_store_dword v1, off, s[36:39], 0 offset:304 ; 4-byte Folded Spill
	s_nop 0
	buffer_store_dword v2, off, s[36:39], 0 offset:308 ; 4-byte Folded Spill
	v_add3_u32 v1, v12, v4, s5
	v_ashrrev_i32_e32 v2, 31, v1
	v_lshlrev_b64 v[2:3], 3, v[1:2]
	v_mov_b32_e32 v4, s17
	v_add_co_u32_e32 v2, vcc, s16, v2
	v_addc_co_u32_e32 v3, vcc, v4, v3, vcc
	buffer_store_dword v2, off, s[36:39], 0 offset:568 ; 4-byte Folded Spill
	s_nop 0
	buffer_store_dword v3, off, s[36:39], 0 offset:572 ; 4-byte Folded Spill
	v_add3_u32 v2, v11, v5, s5
	v_ashrrev_i32_e32 v3, 31, v2
	v_lshlrev_b64 v[3:4], 3, v[2:3]
	v_mov_b32_e32 v5, s17
	v_add_co_u32_e32 v26, vcc, s16, v3
	v_subrev_u32_e32 v3, s4, v0
	v_addc_co_u32_e32 v27, vcc, v5, v4, vcc
	v_ashrrev_i32_e32 v4, 31, v3
	v_lshlrev_b64 v[3:4], 3, v[3:4]
	v_mov_b32_e32 v0, s17
	v_add_co_u32_e32 v60, vcc, s16, v3
	v_addc_co_u32_e32 v61, vcc, v0, v4, vcc
	v_subrev_u32_e32 v0, s4, v1
	v_ashrrev_i32_e32 v1, 31, v0
	v_lshlrev_b64 v[0:1], 3, v[0:1]
	v_mov_b32_e32 v3, s17
	v_add_co_u32_e32 v20, vcc, s16, v0
	v_subrev_u32_e32 v0, s4, v2
	v_addc_co_u32_e32 v21, vcc, v3, v1, vcc
	v_ashrrev_i32_e32 v1, 31, v0
	v_lshlrev_b64 v[0:1], 3, v[0:1]
	v_mov_b32_e32 v3, v55
	v_add3_u32 v42, v10, v3, s5
	v_mov_b32_e32 v2, s17
	v_add_co_u32_e32 v16, vcc, s16, v0
	v_ashrrev_i32_e32 v43, 31, v42
	v_addc_co_u32_e32 v17, vcc, v2, v1, vcc
	v_lshlrev_b64 v[0:1], 3, v[42:43]
	v_add3_u32 v43, v12, v3, s5
	v_add_co_u32_e32 v52, vcc, s16, v0
	v_ashrrev_i32_e32 v44, 31, v43
	v_addc_co_u32_e32 v53, vcc, v2, v1, vcc
	v_lshlrev_b64 v[0:1], 3, v[43:44]
	v_add3_u32 v44, v11, v3, s5
	v_add_co_u32_e32 v30, vcc, s16, v0
	v_ashrrev_i32_e32 v45, 31, v44
	v_addc_co_u32_e32 v31, vcc, v2, v1, vcc
	v_lshlrev_b64 v[0:1], 3, v[44:45]
	v_subrev_u32_e32 v48, s4, v42
	v_ashrrev_i32_e32 v49, 31, v48
	v_add_co_u32_e32 v22, vcc, s16, v0
	v_lshlrev_b64 v[48:49], 3, v[48:49]
	v_addc_co_u32_e32 v23, vcc, v2, v1, vcc
	v_subrev_u32_e32 v42, s4, v43
	v_mov_b32_e32 v0, s17
	v_add_co_u32_e32 v1, vcc, s16, v48
	v_ashrrev_i32_e32 v43, 31, v42
	v_addc_co_u32_e32 v2, vcc, v0, v49, vcc
	v_lshlrev_b64 v[42:43], 3, v[42:43]
	buffer_store_dword v1, off, s[36:39], 0 offset:88 ; 4-byte Folded Spill
	s_nop 0
	buffer_store_dword v2, off, s[36:39], 0 offset:92 ; 4-byte Folded Spill
	v_add_co_u32_e32 v1, vcc, s16, v42
	v_subrev_u32_e32 v42, s4, v44
	v_addc_co_u32_e32 v2, vcc, v0, v43, vcc
	v_ashrrev_i32_e32 v43, 31, v42
	v_lshlrev_b64 v[42:43], 3, v[42:43]
	buffer_store_dword v1, off, s[36:39], 0 offset:80 ; 4-byte Folded Spill
	s_nop 0
	buffer_store_dword v2, off, s[36:39], 0 offset:84 ; 4-byte Folded Spill
	v_add_co_u32_e32 v1, vcc, s16, v42
	v_addc_co_u32_e32 v2, vcc, v0, v43, vcc
	buffer_store_dword v1, off, s[36:39], 0 offset:208 ; 4-byte Folded Spill
	s_nop 0
	buffer_store_dword v2, off, s[36:39], 0 offset:212 ; 4-byte Folded Spill
	buffer_load_dword v1, off, s[36:39], 0 offset:264 ; 4-byte Folded Reload
	s_nop 0
	buffer_load_dword v2, off, s[36:39], 0 offset:268 ; 4-byte Folded Reload
	v_mov_b32_e32 v0, s23
	s_waitcnt vmcnt(1)
	v_add_co_u32_e32 v48, vcc, s22, v1
	s_waitcnt vmcnt(0)
	v_addc_co_u32_e32 v49, vcc, v0, v2, vcc
	buffer_load_dword v0, off, s[36:39], 0 offset:256 ; 4-byte Folded Reload
	buffer_load_dword v1, off, s[36:39], 0 offset:272 ; 4-byte Folded Reload
	;; [unrolled: 1-line block ×3, first 2 shown]
	s_waitcnt vmcnt(2)
	v_add_u32_e32 v42, s7, v0
	v_ashrrev_i32_e32 v43, 31, v42
	v_lshlrev_b64 v[42:43], 3, v[42:43]
	v_mov_b32_e32 v0, s23
	v_add_co_u32_e32 v42, vcc, s22, v42
	v_addc_co_u32_e32 v43, vcc, v0, v43, vcc
	s_waitcnt vmcnt(1)
	v_add_co_u32_e32 v1, vcc, s22, v1
	s_waitcnt vmcnt(0)
	v_addc_co_u32_e32 v2, vcc, v0, v2, vcc
	buffer_store_dword v1, off, s[36:39], 0 offset:216 ; 4-byte Folded Spill
	s_nop 0
	buffer_store_dword v2, off, s[36:39], 0 offset:220 ; 4-byte Folded Spill
	buffer_load_dword v0, off, s[36:39], 0 offset:200 ; 4-byte Folded Reload
	s_nop 0
	buffer_load_dword v1, off, s[36:39], 0 offset:248 ; 4-byte Folded Reload
	buffer_load_dword v2, off, s[36:39], 0 offset:252 ; 4-byte Folded Reload
	s_waitcnt vmcnt(2)
	v_add_u32_e32 v44, s7, v0
	v_ashrrev_i32_e32 v45, 31, v44
	v_lshlrev_b64 v[44:45], 3, v[44:45]
	v_mov_b32_e32 v0, s23
	v_add_co_u32_e32 v44, vcc, s22, v44
	v_addc_co_u32_e32 v45, vcc, v0, v45, vcc
	s_waitcnt vmcnt(1)
	v_add_co_u32_e32 v1, vcc, s22, v1
	s_waitcnt vmcnt(0)
	v_addc_co_u32_e32 v2, vcc, v0, v2, vcc
	buffer_store_dword v1, off, s[36:39], 0 offset:200 ; 4-byte Folded Spill
	s_nop 0
	buffer_store_dword v2, off, s[36:39], 0 offset:204 ; 4-byte Folded Spill
	buffer_load_dword v0, off, s[36:39], 0 offset:192 ; 4-byte Folded Reload
	s_waitcnt vmcnt(0)
	v_add_u32_e32 v54, s7, v0
	v_ashrrev_i32_e32 v55, 31, v54
	v_lshlrev_b64 v[54:55], 3, v[54:55]
	v_mov_b32_e32 v0, s23
	v_add_co_u32_e32 v1, vcc, s22, v54
	v_addc_co_u32_e32 v2, vcc, v0, v55, vcc
	buffer_store_dword v1, off, s[36:39], 0 offset:192 ; 4-byte Folded Spill
	s_nop 0
	buffer_store_dword v2, off, s[36:39], 0 offset:196 ; 4-byte Folded Spill
	buffer_load_dword v0, off, s[36:39], 0 offset:496 ; 4-byte Folded Reload
	s_nop 0
	buffer_load_dword v1, off, s[36:39], 0 offset:500 ; 4-byte Folded Reload
	buffer_load_dword v2, off, s[36:39], 0 offset:408 ; 4-byte Folded Reload
	;; [unrolled: 1-line block ×3, first 2 shown]
	s_waitcnt vmcnt(0)
	v_add_f64 v[2:3], v[0:1], -v[2:3]
	buffer_load_dword v0, off, s[36:39], 0 offset:40 ; 4-byte Folded Reload
	buffer_load_dword v1, off, s[36:39], 0 offset:44 ; 4-byte Folded Reload
	buffer_load_dword v4, off, s[36:39], 0 offset:544 ; 4-byte Folded Reload
	buffer_load_dword v5, off, s[36:39], 0 offset:548 ; 4-byte Folded Reload
	v_mul_f64 v[2:3], v[2:3], s[0:1]
	s_waitcnt vmcnt(0)
	v_mul_f64 v[4:5], v[0:1], v[4:5]
	buffer_load_dword v0, off, s[36:39], 0 offset:448 ; 4-byte Folded Reload
	buffer_load_dword v1, off, s[36:39], 0 offset:452 ; 4-byte Folded Reload
	s_waitcnt vmcnt(0)
	v_add_f64 v[0:1], v[0:1], -v[62:63]
	v_fma_f64 v[0:1], v[0:1], s[2:3], v[2:3]
	buffer_load_dword v2, off, s[36:39], 0 offset:504 ; 4-byte Folded Reload
	buffer_load_dword v3, off, s[36:39], 0 offset:508 ; 4-byte Folded Reload
	;; [unrolled: 1-line block ×6, first 2 shown]
	s_waitcnt vmcnt(2)
	v_add_f64 v[2:3], v[2:3], -v[8:9]
	s_waitcnt vmcnt(0)
	v_mul_f64 v[18:19], v[4:5], v[10:11]
	buffer_load_dword v8, off, s[36:39], 0 offset:592 ; 4-byte Folded Reload
	buffer_load_dword v9, off, s[36:39], 0 offset:596 ; 4-byte Folded Reload
	;; [unrolled: 1-line block ×4, first 2 shown]
	v_mul_f64 v[2:3], v[2:3], s[0:1]
	v_mul_f64 v[0:1], v[18:19], v[0:1]
	s_waitcnt vmcnt(0)
	v_mul_f64 v[62:63], v[8:9], v[4:5]
	v_fma_f64 v[4:5], v[8:9], v[0:1], v[62:63]
	buffer_load_dword v0, off, s[36:39], 0 offset:32 ; 4-byte Folded Reload
	buffer_load_dword v1, off, s[36:39], 0 offset:36 ; 4-byte Folded Reload
	;; [unrolled: 1-line block ×4, first 2 shown]
	s_waitcnt vmcnt(0)
	v_mul_f64 v[62:63], v[0:1], v[54:55]
	buffer_load_dword v0, off, s[36:39], 0 offset:392 ; 4-byte Folded Reload
	buffer_load_dword v1, off, s[36:39], 0 offset:396 ; 4-byte Folded Reload
	;; [unrolled: 1-line block ×6, first 2 shown]
	s_waitcnt vmcnt(2)
	v_add_f64 v[0:1], v[0:1], -v[12:13]
	v_mov_b32_e32 v13, v9
	v_mov_b32_e32 v12, v8
	v_fma_f64 v[0:1], v[0:1], s[2:3], v[2:3]
	s_waitcnt vmcnt(0)
	v_mul_f64 v[2:3], v[62:63], v[14:15]
	buffer_store_dword v2, off, s[36:39], 0 offset:32 ; 4-byte Folded Spill
	s_nop 0
	buffer_store_dword v3, off, s[36:39], 0 offset:36 ; 4-byte Folded Spill
	v_mul_f64 v[0:1], v[2:3], v[0:1]
	buffer_load_dword v2, off, s[36:39], 0 offset:96 ; 4-byte Folded Reload
	buffer_load_dword v3, off, s[36:39], 0 offset:100 ; 4-byte Folded Reload
	s_waitcnt vmcnt(0)
	v_mul_f64 v[2:3], v[8:9], v[2:3]
	v_fma_f64 v[0:1], v[8:9], v[0:1], v[2:3]
	buffer_load_dword v2, off, s[36:39], 0 offset:552 ; 4-byte Folded Reload
	buffer_load_dword v3, off, s[36:39], 0 offset:556 ; 4-byte Folded Reload
	;; [unrolled: 1-line block ×4, first 2 shown]
	v_add_f64 v[0:1], v[4:5], -v[0:1]
	buffer_load_dword v4, off, s[36:39], 0 offset:576 ; 4-byte Folded Reload
	buffer_load_dword v5, off, s[36:39], 0 offset:580 ; 4-byte Folded Reload
	s_nop 0
	global_load_dwordx2 v[56:57], v[56:57], off
	s_nop 0
	global_load_dwordx2 v[54:55], v[58:59], off
	s_waitcnt vmcnt(0)
	buffer_store_dword v54, off, s[36:39], 0 offset:96 ; 4-byte Folded Spill
	s_nop 0
	buffer_store_dword v55, off, s[36:39], 0 offset:100 ; 4-byte Folded Spill
	v_mul_f64 v[2:3], v[8:9], v[2:3]
	global_load_dwordx2 v[8:9], v[50:51], off
	s_waitcnt vmcnt(0)
	buffer_store_dword v8, off, s[36:39], 0 offset:40 ; 4-byte Folded Spill
	s_nop 0
	buffer_store_dword v9, off, s[36:39], 0 offset:44 ; 4-byte Folded Spill
	v_mul_f64 v[2:3], v[2:3], v[4:5]
	buffer_load_dword v4, off, s[36:39], 0 offset:488 ; 4-byte Folded Reload
	buffer_load_dword v5, off, s[36:39], 0 offset:492 ; 4-byte Folded Reload
	v_add_f64 v[50:51], v[54:55], -v[8:9]
	global_load_dwordx2 v[54:55], v[6:7], off
	global_load_dwordx2 v[8:9], v[38:39], off
	s_waitcnt vmcnt(0)
	buffer_store_dword v8, off, s[36:39], 0 offset:224 ; 4-byte Folded Spill
	s_nop 0
	buffer_store_dword v9, off, s[36:39], 0 offset:228 ; 4-byte Folded Spill
	global_load_dwordx2 v[6:7], v[34:35], off
	s_waitcnt vmcnt(0)
	buffer_store_dword v6, off, s[36:39], 0 offset:56 ; 4-byte Folded Spill
	s_nop 0
	buffer_store_dword v7, off, s[36:39], 0 offset:60 ; 4-byte Folded Spill
	buffer_load_dword v34, off, s[36:39], 0 offset:560 ; 4-byte Folded Reload
	buffer_load_dword v35, off, s[36:39], 0 offset:564 ; 4-byte Folded Reload
	v_add_f64 v[4:5], v[4:5], -v[56:57]
	v_mul_f64 v[4:5], v[4:5], s[0:1]
	v_fma_f64 v[4:5], v[50:51], s[2:3], v[4:5]
	v_add_f64 v[38:39], v[8:9], -v[6:7]
	buffer_load_dword v6, off, s[36:39], 0 offset:528 ; 4-byte Folded Reload
	buffer_load_dword v7, off, s[36:39], 0 offset:532 ; 4-byte Folded Reload
	;; [unrolled: 1-line block ×4, first 2 shown]
	s_waitcnt vmcnt(4)
	v_add_f64 v[34:35], v[34:35], -v[54:55]
	v_mul_f64 v[34:35], v[34:35], s[0:1]
	v_fma_f64 v[34:35], v[38:39], s[2:3], v[34:35]
	s_waitcnt vmcnt(0)
	v_mul_f64 v[38:39], v[8:9], v[6:7]
	buffer_load_dword v6, off, s[36:39], 0 offset:424 ; 4-byte Folded Reload
	buffer_load_dword v7, off, s[36:39], 0 offset:428 ; 4-byte Folded Reload
	v_mul_f64 v[8:9], v[2:3], v[4:5]
	s_waitcnt vmcnt(0)
	v_fma_f64 v[50:51], v[0:1], s[2:3], v[6:7]
	buffer_load_dword v0, off, s[36:39], 0 offset:480 ; 4-byte Folded Reload
	buffer_load_dword v1, off, s[36:39], 0 offset:484 ; 4-byte Folded Reload
	;; [unrolled: 1-line block ×4, first 2 shown]
	s_waitcnt vmcnt(0)
	v_add_f64 v[62:63], v[0:1], -v[6:7]
	buffer_load_dword v0, off, s[36:39], 0 offset:384 ; 4-byte Folded Reload
	buffer_load_dword v1, off, s[36:39], 0 offset:388 ; 4-byte Folded Reload
	;; [unrolled: 1-line block ×4, first 2 shown]
	s_waitcnt vmcnt(0)
	v_add_f64 v[6:7], v[0:1], -v[6:7]
	buffer_load_dword v0, off, s[36:39], 0 offset:432 ; 4-byte Folded Reload
	buffer_load_dword v1, off, s[36:39], 0 offset:436 ; 4-byte Folded Reload
	s_waitcnt vmcnt(0)
	v_mul_f64 v[4:5], v[0:1], v[34:35]
	buffer_load_dword v0, off, s[36:39], 0 offset:584 ; 4-byte Folded Reload
	buffer_load_dword v1, off, s[36:39], 0 offset:588 ; 4-byte Folded Reload
	s_nop 0
	global_load_dwordx2 v[46:47], v[46:47], off
	s_nop 0
	global_load_dwordx2 v[2:3], v[36:37], off
	s_waitcnt vmcnt(0)
	buffer_store_dword v2, off, s[36:39], 0 offset:256 ; 4-byte Folded Spill
	s_nop 0
	buffer_store_dword v3, off, s[36:39], 0 offset:260 ; 4-byte Folded Spill
	v_mul_f64 v[38:39], v[38:39], v[0:1]
	global_load_dwordx2 v[0:1], v[32:33], off
	s_waitcnt vmcnt(0)
	buffer_store_dword v0, off, s[36:39], 0 offset:72 ; 4-byte Folded Spill
	s_nop 0
	buffer_store_dword v1, off, s[36:39], 0 offset:76 ; 4-byte Folded Spill
	buffer_load_dword v32, off, s[36:39], 0 offset:456 ; 4-byte Folded Reload
	buffer_load_dword v33, off, s[36:39], 0 offset:460 ; 4-byte Folded Reload
	v_add_f64 v[36:37], v[2:3], -v[0:1]
	s_waitcnt vmcnt(0)
	v_add_f64 v[32:33], v[32:33], -v[46:47]
	v_mul_f64 v[32:33], v[32:33], s[0:1]
	v_fma_f64 v[0:1], v[36:37], s[2:3], v[32:33]
	global_load_dwordx2 v[32:33], v[40:41], off
	global_load_dwordx2 v[36:37], v[28:29], off
	;; [unrolled: 1-line block ×3, first 2 shown]
	s_waitcnt vmcnt(0)
	buffer_store_dword v2, off, s[36:39], 0 offset:248 ; 4-byte Folded Spill
	s_nop 0
	buffer_store_dword v3, off, s[36:39], 0 offset:252 ; 4-byte Folded Spill
	buffer_load_dword v24, off, s[36:39], 0 offset:464 ; 4-byte Folded Reload
	buffer_load_dword v25, off, s[36:39], 0 offset:468 ; 4-byte Folded Reload
	v_add_f64 v[28:29], v[36:37], -v[2:3]
	s_waitcnt vmcnt(0)
	v_add_f64 v[24:25], v[24:25], -v[32:33]
	v_mul_f64 v[24:25], v[24:25], s[0:1]
	v_fma_f64 v[24:25], v[28:29], s[2:3], v[24:25]
	v_mul_f64 v[28:29], v[62:63], s[0:1]
	v_fma_f64 v[6:7], v[6:7], s[2:3], v[28:29]
	v_mul_f64 v[28:29], v[38:39], v[0:1]
	buffer_load_dword v0, off, s[36:39], 0 offset:112 ; 4-byte Folded Reload
	buffer_load_dword v1, off, s[36:39], 0 offset:116 ; 4-byte Folded Reload
	s_waitcnt vmcnt(0)
	v_mul_f64 v[24:25], v[0:1], v[24:25]
	buffer_load_dword v0, off, s[36:39], 0  ; 4-byte Folded Reload
	buffer_load_dword v1, off, s[36:39], 0 offset:4 ; 4-byte Folded Reload
	buffer_load_dword v2, off, s[36:39], 0 offset:8 ; 4-byte Folded Reload
	;; [unrolled: 1-line block ×5, first 2 shown]
	s_waitcnt vmcnt(4)
	v_mul_f64 v[8:9], v[0:1], v[8:9]
	v_mul_f64 v[28:29], v[0:1], v[28:29]
	s_waitcnt vmcnt(0)
	v_mul_f64 v[4:5], v[2:3], v[4:5]
	v_mul_f64 v[24:25], v[2:3], v[24:25]
	v_fma_f64 v[8:9], v[2:3], v[8:9], v[4:5]
	buffer_load_dword v4, off, s[36:39], 0 offset:520 ; 4-byte Folded Reload
	buffer_load_dword v5, off, s[36:39], 0 offset:524 ; 4-byte Folded Reload
	;; [unrolled: 1-line block ×4, first 2 shown]
	v_fma_f64 v[0:1], v[2:3], v[28:29], v[24:25]
	buffer_load_dword v2, off, s[36:39], 0 offset:304 ; 4-byte Folded Reload
	buffer_load_dword v3, off, s[36:39], 0 offset:308 ; 4-byte Folded Reload
	s_waitcnt vmcnt(2)
	v_mul_f64 v[4:5], v[38:39], v[4:5]
	s_waitcnt vmcnt(0)
	global_load_dwordx2 v[40:41], v[2:3], off
	s_nop 0
	buffer_load_dword v2, off, s[36:39], 0 offset:568 ; 4-byte Folded Reload
	buffer_load_dword v3, off, s[36:39], 0 offset:572 ; 4-byte Folded Reload
	s_waitcnt vmcnt(0)
	global_load_dwordx2 v[28:29], v[2:3], off
	global_load_dwordx2 v[34:35], v[26:27], off
	s_nop 0
	buffer_load_dword v2, off, s[36:39], 0 offset:312 ; 4-byte Folded Reload
	buffer_load_dword v3, off, s[36:39], 0 offset:316 ; 4-byte Folded Reload
	v_mul_f64 v[4:5], v[4:5], v[10:11]
	s_waitcnt vmcnt(2)
	v_add_f64 v[26:27], v[28:29], -v[34:35]
	s_waitcnt vmcnt(0)
	v_add_f64 v[24:25], v[2:3], -v[40:41]
	v_mul_f64 v[24:25], v[24:25], s[0:1]
	v_fma_f64 v[26:27], v[26:27], s[2:3], v[24:25]
	global_load_dwordx2 v[24:25], v[60:61], off
	global_load_dwordx2 v[38:39], v[20:21], off
	;; [unrolled: 1-line block ×3, first 2 shown]
	buffer_load_dword v2, off, s[36:39], 0 offset:336 ; 4-byte Folded Reload
	buffer_load_dword v3, off, s[36:39], 0 offset:340 ; 4-byte Folded Reload
	v_fma_f64 v[60:61], v[12:13], v[6:7], v[50:51]
	v_mov_b32_e32 v51, v13
	v_mov_b32_e32 v50, v12
	v_mul_f64 v[26:27], v[4:5], v[26:27]
	s_waitcnt vmcnt(2)
	v_add_f64 v[20:21], v[38:39], -v[58:59]
	s_waitcnt vmcnt(0)
	v_add_f64 v[16:17], v[2:3], -v[24:25]
	v_mul_f64 v[16:17], v[16:17], s[0:1]
	v_fma_f64 v[20:21], v[20:21], s[2:3], v[16:17]
	buffer_load_dword v2, off, s[36:39], 0 offset:512 ; 4-byte Folded Reload
	buffer_load_dword v3, off, s[36:39], 0 offset:516 ; 4-byte Folded Reload
	;; [unrolled: 1-line block ×4, first 2 shown]
	s_waitcnt vmcnt(0)
	v_mul_f64 v[62:63], v[16:17], v[2:3]
	v_add_f64 v[16:17], v[8:9], -v[0:1]
	v_mul_f64 v[2:3], v[18:19], v[20:21]
	v_add_f64 v[18:19], v[56:57], -v[46:47]
	v_mul_f64 v[0:1], v[62:63], v[14:15]
	global_load_dwordx2 v[6:7], v[52:53], off
	global_load_dwordx2 v[4:5], v[30:31], off
	;; [unrolled: 1-line block ×3, first 2 shown]
	buffer_load_dword v8, off, s[36:39], 0 offset:296 ; 4-byte Folded Reload
	buffer_load_dword v9, off, s[36:39], 0 offset:300 ; 4-byte Folded Reload
	v_fma_f64 v[16:17], v[16:17], s[0:1], v[60:61]
	s_waitcnt vmcnt(2)
	v_add_f64 v[12:13], v[4:5], -v[62:63]
	s_waitcnt vmcnt(0)
	v_add_f64 v[10:11], v[8:9], -v[6:7]
	v_add_f64 v[6:7], v[40:41], -v[6:7]
	;; [unrolled: 1-line block ×3, first 2 shown]
	v_mul_f64 v[10:11], v[10:11], s[0:1]
	v_fma_f64 v[10:11], v[12:13], s[2:3], v[10:11]
	global_load_dwordx2 v[8:9], v[48:49], off
	global_load_dwordx2 v[12:13], v[42:43], off
	buffer_load_dword v14, off, s[36:39], 0 offset:184 ; 4-byte Folded Reload
	buffer_load_dword v15, off, s[36:39], 0 offset:188 ; 4-byte Folded Reload
	s_waitcnt vmcnt(0)
	v_mul_f64 v[8:9], v[14:15], v[8:9]
	v_mul_f64 v[12:13], v[14:15], v[12:13]
	;; [unrolled: 1-line block ×3, first 2 shown]
	v_fma_f64 v[6:7], v[6:7], s[2:3], v[14:15]
	buffer_load_dword v14, off, s[36:39], 0 offset:176 ; 4-byte Folded Reload
	buffer_load_dword v15, off, s[36:39], 0 offset:180 ; 4-byte Folded Reload
	;; [unrolled: 1-line block ×4, first 2 shown]
	s_waitcnt vmcnt(2)
	v_mul_f64 v[8:9], v[14:15], v[8:9]
	s_waitcnt vmcnt(0)
	global_load_dwordx2 v[18:19], v[18:19], off
	s_nop 0
	buffer_load_dword v20, off, s[36:39], 0 offset:288 ; 4-byte Folded Reload
	buffer_load_dword v21, off, s[36:39], 0 offset:292 ; 4-byte Folded Reload
	v_mul_f64 v[12:13], v[14:15], v[12:13]
	v_add_f64 v[14:15], v[54:55], -v[32:33]
	v_mul_f64 v[6:7], v[6:7], v[8:9]
	v_mul_f64 v[14:15], v[14:15], s[0:1]
	s_waitcnt vmcnt(0)
	v_add_f64 v[20:21], v[20:21], -v[18:19]
	v_add_f64 v[18:19], v[24:25], -v[18:19]
	v_mul_f64 v[20:21], v[20:21], s[0:1]
	v_fma_f64 v[14:15], v[18:19], s[2:3], v[14:15]
	buffer_load_dword v18, off, s[36:39], 0 offset:80 ; 4-byte Folded Reload
	buffer_load_dword v19, off, s[36:39], 0 offset:84 ; 4-byte Folded Reload
	v_mul_f64 v[12:13], v[14:15], v[12:13]
	s_waitcnt vmcnt(0)
	global_load_dwordx2 v[18:19], v[18:19], off
	s_nop 0
	buffer_load_dword v22, off, s[36:39], 0 offset:208 ; 4-byte Folded Reload
	buffer_load_dword v23, off, s[36:39], 0 offset:212 ; 4-byte Folded Reload
	s_waitcnt vmcnt(0)
	global_load_dwordx2 v[22:23], v[22:23], off
	s_nop 0
	buffer_load_dword v8, off, s[36:39], 0 offset:96 ; 4-byte Folded Reload
	buffer_load_dword v9, off, s[36:39], 0 offset:100 ; 4-byte Folded Reload
	;; [unrolled: 1-line block ×4, first 2 shown]
	s_waitcnt vmcnt(4)
	v_add_f64 v[40:41], v[18:19], -v[22:23]
	s_waitcnt vmcnt(0)
	v_add_f64 v[8:9], v[8:9], -v[14:15]
	buffer_load_dword v14, off, s[36:39], 0 offset:216 ; 4-byte Folded Reload
	buffer_load_dword v15, off, s[36:39], 0 offset:220 ; 4-byte Folded Reload
	v_fma_f64 v[40:41], v[40:41], s[2:3], v[20:21]
	s_waitcnt vmcnt(0)
	global_load_dwordx2 v[14:15], v[14:15], off
	s_nop 0
	global_load_dwordx2 v[20:21], v[44:45], off
	buffer_load_dword v30, off, s[36:39], 0 offset:168 ; 4-byte Folded Reload
	buffer_load_dword v31, off, s[36:39], 0 offset:172 ; 4-byte Folded Reload
	;; [unrolled: 1-line block ×4, first 2 shown]
	v_mul_f64 v[8:9], v[8:9], s[0:1]
	v_fma_f64 v[4:5], v[4:5], s[2:3], v[8:9]
	buffer_load_dword v8, off, s[36:39], 0 offset:160 ; 4-byte Folded Reload
	buffer_load_dword v9, off, s[36:39], 0 offset:164 ; 4-byte Folded Reload
	s_waitcnt vmcnt(4)
	v_mul_f64 v[14:15], v[30:31], v[14:15]
	v_mul_f64 v[20:21], v[30:31], v[20:21]
	s_waitcnt vmcnt(2)
	v_add_f64 v[30:31], v[24:25], -v[36:37]
	s_waitcnt vmcnt(0)
	v_mul_f64 v[14:15], v[8:9], v[14:15]
	v_mul_f64 v[32:33], v[8:9], v[20:21]
	v_add_f64 v[8:9], v[38:39], -v[18:19]
	v_mul_f64 v[18:19], v[30:31], s[0:1]
	v_fma_f64 v[18:19], v[8:9], s[2:3], v[18:19]
	buffer_load_dword v8, off, s[36:39], 0 offset:40 ; 4-byte Folded Reload
	buffer_load_dword v9, off, s[36:39], 0 offset:44 ; 4-byte Folded Reload
	;; [unrolled: 1-line block ×6, first 2 shown]
	s_waitcnt vmcnt(2)
	v_add_f64 v[8:9], v[8:9], -v[20:21]
	s_waitcnt vmcnt(0)
	global_load_dwordx2 v[28:29], v[24:25], off
	s_nop 0
	buffer_load_dword v24, off, s[36:39], 0 offset:192 ; 4-byte Folded Reload
	buffer_load_dword v25, off, s[36:39], 0 offset:196 ; 4-byte Folded Reload
	v_add_f64 v[20:21], v[34:35], -v[62:63]
	v_mul_f64 v[8:9], v[8:9], s[0:1]
	v_fma_f64 v[36:37], v[20:21], s[2:3], v[8:9]
	s_waitcnt vmcnt(0)
	global_load_dwordx2 v[30:31], v[24:25], off
	buffer_load_dword v34, off, s[36:39], 0 offset:152 ; 4-byte Folded Reload
	buffer_load_dword v35, off, s[36:39], 0 offset:156 ; 4-byte Folded Reload
	s_waitcnt vmcnt(0)
	v_mul_f64 v[28:29], v[34:35], v[28:29]
	v_mul_f64 v[30:31], v[34:35], v[30:31]
	buffer_load_dword v24, off, s[36:39], 0 offset:56 ; 4-byte Folded Reload
	buffer_load_dword v25, off, s[36:39], 0 offset:60 ; 4-byte Folded Reload
	;; [unrolled: 1-line block ×6, first 2 shown]
	buffer_load_dword v42, off, s[36:39], 0 ; 4-byte Folded Reload
	buffer_load_dword v43, off, s[36:39], 0 offset:4 ; 4-byte Folded Reload
	buffer_load_dword v44, off, s[36:39], 0 offset:8 ; 4-byte Folded Reload
	;; [unrolled: 1-line block ×3, first 2 shown]
	s_waitcnt vmcnt(6)
	v_add_f64 v[34:35], v[24:25], -v[34:35]
	s_waitcnt vmcnt(4)
	v_mul_f64 v[28:29], v[8:9], v[28:29]
	v_mul_f64 v[30:31], v[8:9], v[30:31]
	v_add_f64 v[8:9], v[58:59], -v[22:23]
	v_mul_f64 v[20:21], v[34:35], s[0:1]
	v_fma_f64 v[24:25], v[8:9], s[2:3], v[20:21]
	s_waitcnt vmcnt(2)
	v_mul_f64 v[8:9], v[42:43], v[26:27]
	buffer_load_dword v26, off, s[36:39], 0 offset:64 ; 4-byte Folded Reload
	buffer_load_dword v27, off, s[36:39], 0 offset:68 ; 4-byte Folded Reload
	v_mul_f64 v[20:21], v[0:1], v[10:11]
	buffer_load_dword v0, off, s[36:39], 0 offset:32 ; 4-byte Folded Reload
	buffer_load_dword v1, off, s[36:39], 0 offset:36 ; 4-byte Folded Reload
	s_waitcnt vmcnt(2)
	v_mul_f64 v[2:3], v[26:27], v[2:3]
	s_waitcnt vmcnt(0)
	v_mul_f64 v[22:23], v[0:1], v[40:41]
	buffer_load_dword v38, off, s[36:39], 0 offset:232 ; 4-byte Folded Reload
	buffer_load_dword v39, off, s[36:39], 0 offset:236 ; 4-byte Folded Reload
	buffer_load_dword v40, off, s[36:39], 0 offset:240 ; 4-byte Folded Reload
	buffer_load_dword v41, off, s[36:39], 0 offset:244 ; 4-byte Folded Reload
	v_mul_f64 v[0:1], v[36:37], v[28:29]
	v_fma_f64 v[8:9], v[26:27], v[8:9], v[2:3]
	s_waitcnt vmcnt(2)
	v_fma_f64 v[10:11], v[38:39], v[6:7], v[12:13]
	v_mul_f64 v[12:13], v[4:5], v[14:15]
	buffer_load_dword v3, off, s[36:39], 0 offset:48 ; 4-byte Folded Reload
	buffer_load_dword v4, off, s[36:39], 0 offset:52 ; 4-byte Folded Reload
	v_mul_f64 v[14:15], v[18:19], v[32:33]
	v_mul_f64 v[18:19], v[24:25], v[30:31]
	v_mov_b32_e32 v28, v42
	v_mov_b32_e32 v29, v43
	v_mul_f64 v[6:7], v[28:29], v[20:21]
	v_mul_f64 v[20:21], v[26:27], v[22:23]
	v_mov_b32_e32 v30, v44
	v_mov_b32_e32 v31, v45
	v_fma_f64 v[12:13], v[30:31], v[12:13], v[14:15]
	s_waitcnt vmcnt(2)
	v_fma_f64 v[0:1], v[40:41], v[0:1], v[18:19]
	v_mov_b32_e32 v24, v50
	v_mov_b32_e32 v25, v51
	v_fma_f64 v[6:7], v[26:27], v[6:7], v[20:21]
	v_add_f64 v[0:1], v[12:13], -v[0:1]
	v_add_f64 v[6:7], v[8:9], -v[6:7]
	v_fma_f64 v[6:7], v[6:7], s[2:3], v[16:17]
	s_waitcnt vmcnt(1)
	v_add_co_u32_e32 v2, vcc, s26, v3
	v_mov_b32_e32 v3, s27
	s_waitcnt vmcnt(0)
	v_addc_co_u32_e32 v3, vcc, v3, v4, vcc
	global_load_dwordx2 v[4:5], v[2:3], off
	buffer_load_dword v22, off, s[36:39], 0 offset:376 ; 4-byte Folded Reload
	buffer_load_dword v23, off, s[36:39], 0 offset:380 ; 4-byte Folded Reload
	buffer_load_dword v20, off, s[36:39], 0 offset:280 ; 4-byte Folded Reload
	buffer_load_dword v21, off, s[36:39], 0 offset:284 ; 4-byte Folded Reload
	buffer_load_dword v14, off, s[36:39], 0 offset:368 ; 4-byte Folded Reload
	buffer_load_dword v15, off, s[36:39], 0 offset:372 ; 4-byte Folded Reload
	s_waitcnt vmcnt(4)
	v_fma_f64 v[22:23], v[24:25], v[22:23], 0
	s_waitcnt vmcnt(2)
	v_add_f64 v[10:11], v[20:21], -v[10:11]
	s_waitcnt vmcnt(0)
	v_fma_f64 v[14:15], v[26:27], v[14:15], v[22:23]
	v_mul_f64 v[8:9], v[10:11], s[0:1]
	buffer_load_dword v10, off, s[36:39], 0 offset:352 ; 4-byte Folded Reload
	buffer_load_dword v11, off, s[36:39], 0 offset:356 ; 4-byte Folded Reload
	v_fma_f64 v[0:1], v[0:1], s[2:3], v[8:9]
	buffer_load_dword v8, off, s[36:39], 0 offset:344 ; 4-byte Folded Reload
	buffer_load_dword v9, off, s[36:39], 0 offset:348 ; 4-byte Folded Reload
	v_fma_f64 v[0:1], v[26:27], v[0:1], v[6:7]
	s_waitcnt vmcnt(2)
	v_fma_f64 v[10:11], v[24:25], v[10:11], v[14:15]
	s_waitcnt vmcnt(0)
	v_fma_f64 v[8:9], v[26:27], v[8:9], v[10:11]
	v_add_f64 v[0:1], v[8:9], v[0:1]
	buffer_load_dword v6, off, s[36:39], 0 offset:120 ; 4-byte Folded Reload
	buffer_load_dword v7, off, s[36:39], 0 offset:124 ; 4-byte Folded Reload
	;; [unrolled: 1-line block ×6, first 2 shown]
	v_mul_f64 v[0:1], s[14:15], v[0:1]
	s_waitcnt vmcnt(0)
	v_div_fixup_f64 v[6:7], v[10:11], v[6:7], v[8:9]
	v_mul_f64 v[0:1], v[6:7], v[0:1]
	v_fma_f64 v[0:1], s[12:13], v[4:5], v[0:1]
	global_store_dwordx2 v[2:3], v[0:1], off
.LBB3_2:
	s_endpgm
	.section	.rodata,"a",@progbits
	.p2align	6, 0x0
	.amdhsa_kernel _Z7kernel4iiiiiiiiiiiiddPKdS0_S0_S0_S0_PdS0_S0_S0_S0_S0_S0_S0_
		.amdhsa_group_segment_fixed_size 0
		.amdhsa_private_segment_fixed_size 660
		.amdhsa_kernarg_size 424
		.amdhsa_user_sgpr_count 6
		.amdhsa_user_sgpr_private_segment_buffer 1
		.amdhsa_user_sgpr_dispatch_ptr 0
		.amdhsa_user_sgpr_queue_ptr 0
		.amdhsa_user_sgpr_kernarg_segment_ptr 1
		.amdhsa_user_sgpr_dispatch_id 0
		.amdhsa_user_sgpr_flat_scratch_init 0
		.amdhsa_user_sgpr_private_segment_size 0
		.amdhsa_uses_dynamic_stack 0
		.amdhsa_system_sgpr_private_segment_wavefront_offset 1
		.amdhsa_system_sgpr_workgroup_id_x 1
		.amdhsa_system_sgpr_workgroup_id_y 1
		.amdhsa_system_sgpr_workgroup_id_z 1
		.amdhsa_system_sgpr_workgroup_info 0
		.amdhsa_system_vgpr_workitem_id 2
		.amdhsa_next_free_vgpr 64
		.amdhsa_next_free_sgpr 40
		.amdhsa_reserve_vcc 1
		.amdhsa_reserve_flat_scratch 0
		.amdhsa_float_round_mode_32 0
		.amdhsa_float_round_mode_16_64 0
		.amdhsa_float_denorm_mode_32 3
		.amdhsa_float_denorm_mode_16_64 3
		.amdhsa_dx10_clamp 1
		.amdhsa_ieee_mode 1
		.amdhsa_fp16_overflow 0
		.amdhsa_exception_fp_ieee_invalid_op 0
		.amdhsa_exception_fp_denorm_src 0
		.amdhsa_exception_fp_ieee_div_zero 0
		.amdhsa_exception_fp_ieee_overflow 0
		.amdhsa_exception_fp_ieee_underflow 0
		.amdhsa_exception_fp_ieee_inexact 0
		.amdhsa_exception_int_div_zero 0
	.end_amdhsa_kernel
	.text
.Lfunc_end3:
	.size	_Z7kernel4iiiiiiiiiiiiddPKdS0_S0_S0_S0_PdS0_S0_S0_S0_S0_S0_S0_, .Lfunc_end3-_Z7kernel4iiiiiiiiiiiiddPKdS0_S0_S0_S0_PdS0_S0_S0_S0_S0_S0_S0_
                                        ; -- End function
	.set _Z7kernel4iiiiiiiiiiiiddPKdS0_S0_S0_S0_PdS0_S0_S0_S0_S0_S0_S0_.num_vgpr, 64
	.set _Z7kernel4iiiiiiiiiiiiddPKdS0_S0_S0_S0_PdS0_S0_S0_S0_S0_S0_S0_.num_agpr, 0
	.set _Z7kernel4iiiiiiiiiiiiddPKdS0_S0_S0_S0_PdS0_S0_S0_S0_S0_S0_S0_.numbered_sgpr, 40
	.set _Z7kernel4iiiiiiiiiiiiddPKdS0_S0_S0_S0_PdS0_S0_S0_S0_S0_S0_S0_.num_named_barrier, 0
	.set _Z7kernel4iiiiiiiiiiiiddPKdS0_S0_S0_S0_PdS0_S0_S0_S0_S0_S0_S0_.private_seg_size, 660
	.set _Z7kernel4iiiiiiiiiiiiddPKdS0_S0_S0_S0_PdS0_S0_S0_S0_S0_S0_S0_.uses_vcc, 1
	.set _Z7kernel4iiiiiiiiiiiiddPKdS0_S0_S0_S0_PdS0_S0_S0_S0_S0_S0_S0_.uses_flat_scratch, 0
	.set _Z7kernel4iiiiiiiiiiiiddPKdS0_S0_S0_S0_PdS0_S0_S0_S0_S0_S0_S0_.has_dyn_sized_stack, 0
	.set _Z7kernel4iiiiiiiiiiiiddPKdS0_S0_S0_S0_PdS0_S0_S0_S0_S0_S0_S0_.has_recursion, 0
	.set _Z7kernel4iiiiiiiiiiiiddPKdS0_S0_S0_S0_PdS0_S0_S0_S0_S0_S0_S0_.has_indirect_call, 0
	.section	.AMDGPU.csdata,"",@progbits
; Kernel info:
; codeLenInByte = 15812
; TotalNumSgprs: 44
; NumVgprs: 64
; ScratchSize: 660
; MemoryBound: 0
; FloatMode: 240
; IeeeMode: 1
; LDSByteSize: 0 bytes/workgroup (compile time only)
; SGPRBlocks: 5
; VGPRBlocks: 15
; NumSGPRsForWavesPerEU: 44
; NumVGPRsForWavesPerEU: 64
; Occupancy: 4
; WaveLimiterHint : 0
; COMPUTE_PGM_RSRC2:SCRATCH_EN: 1
; COMPUTE_PGM_RSRC2:USER_SGPR: 6
; COMPUTE_PGM_RSRC2:TRAP_HANDLER: 0
; COMPUTE_PGM_RSRC2:TGID_X_EN: 1
; COMPUTE_PGM_RSRC2:TGID_Y_EN: 1
; COMPUTE_PGM_RSRC2:TGID_Z_EN: 1
; COMPUTE_PGM_RSRC2:TIDIG_COMP_CNT: 2
	.text
	.protected	_Z7kernel5iiiiiiiiiiiiiddPKdS0_S0_S0_S0_PdS0_S0_S0_S0_S0_S0_S0_ ; -- Begin function _Z7kernel5iiiiiiiiiiiiiddPKdS0_S0_S0_S0_PdS0_S0_S0_S0_S0_S0_S0_
	.globl	_Z7kernel5iiiiiiiiiiiiiddPKdS0_S0_S0_S0_PdS0_S0_S0_S0_S0_S0_S0_
	.p2align	8
	.type	_Z7kernel5iiiiiiiiiiiiiddPKdS0_S0_S0_S0_PdS0_S0_S0_S0_S0_S0_S0_,@function
_Z7kernel5iiiiiiiiiiiiiddPKdS0_S0_S0_S0_PdS0_S0_S0_S0_S0_S0_S0_: ; @_Z7kernel5iiiiiiiiiiiiiddPKdS0_S0_S0_S0_PdS0_S0_S0_S0_S0_S0_S0_
; %bb.0:
	s_mov_b64 s[46:47], s[2:3]
	s_mov_b64 s[44:45], s[0:1]
	s_load_dwordx8 s[16:23], s[4:5], 0x0
	s_load_dwordx2 s[0:1], s[4:5], 0xbc
	s_add_u32 s44, s44, s9
	s_addc_u32 s45, s45, 0
	s_waitcnt lgkmcnt(0)
	v_add_u32_e32 v3, s16, v0
	s_and_b32 s1, s1, 0xffff
	s_lshr_b32 s2, s0, 16
	s_and_b32 s0, s0, 0xffff
	s_mul_i32 s33, s6, s0
	v_add_u32_e32 v1, s18, v1
	s_mul_i32 s35, s7, s2
	s_mul_i32 s0, s8, s1
	v_add_u32_e32 v22, s33, v3
	v_add_u32_e32 v21, s35, v1
	s_add_i32 s0, s0, s20
	v_add_u32_e32 v19, s0, v2
	v_cmp_gt_i32_e32 vcc, s17, v22
	v_cmp_gt_i32_e64 s[0:1], s19, v21
	s_and_b64 s[0:1], vcc, s[0:1]
	v_cmp_gt_i32_e32 vcc, s21, v19
	s_and_b64 s[0:1], s[0:1], vcc
	s_and_saveexec_b64 s[2:3], s[0:1]
	s_cbranch_execz .LBB4_13
; %bb.1:
	buffer_store_dword v0, off, s[44:47], 0 offset:864 ; 4-byte Folded Spill
	s_load_dwordx4 s[36:39], s[4:5], 0x20
	s_load_dwordx8 s[24:31], s[4:5], 0x90
	buffer_store_dword v1, off, s[44:47], 0 offset:24 ; 4-byte Folded Spill
	buffer_store_dword v3, off, s[44:47], 0 offset:8 ; 4-byte Folded Spill
	v_subrev_u32_e32 v5, s22, v22
	s_waitcnt lgkmcnt(0)
	v_subrev_u32_e32 v0, s36, v21
	v_ashrrev_i32_e32 v1, 31, v0
	v_lshlrev_b64 v[0:1], 3, v[0:1]
	v_mov_b32_e32 v2, s31
	v_add_co_u32_e32 v15, vcc, s30, v0
	v_addc_co_u32_e32 v16, vcc, v2, v1, vcc
	global_load_dwordx4 v[1:4], v[15:16], off
	v_ashrrev_i32_e32 v6, 31, v5
	v_lshlrev_b64 v[5:6], 3, v[5:6]
	v_mov_b32_e32 v0, s29
	v_add_co_u32_e32 v17, vcc, s28, v5
	v_addc_co_u32_e32 v18, vcc, v0, v6, vcc
	global_load_dwordx4 v[5:8], v[17:18], off
	s_sub_i32 s7, s23, s22
	buffer_store_dword v19, off, s[44:47], 0 offset:336 ; 4-byte Folded Spill
	v_add_u32_e32 v23, -2, v22
	v_add_u32_e32 v24, -1, v22
	buffer_store_dword v23, off, s[44:47], 0 offset:288 ; 4-byte Folded Spill
	buffer_store_dword v24, off, s[44:47], 0 offset:296 ; 4-byte Folded Spill
	s_load_dwordx8 s[8:15], s[4:5], 0x48
	v_ashrrev_i32_e32 v0, 31, v22
	v_add_u32_e32 v34, 1, v22
	buffer_store_dword v34, off, s[44:47], 0 offset:304 ; 4-byte Folded Spill
	s_lshl_b32 s42, s38, 1
	s_waitcnt lgkmcnt(0)
	v_mov_b32_e32 v28, s11
	v_mov_b32_e32 v39, s13
	v_mov_b32_e32 v41, s11
	v_mov_b32_e32 v42, s13
	v_mov_b32_e32 v49, s11
	v_mov_b32_e32 v50, s13
	v_mov_b32_e32 v40, s15
	v_mov_b32_e32 v33, s11
	v_mov_b32_e32 v52, s13
	s_mul_i32 s43, s38, 3
	s_sub_i32 s40, 0, s22
	s_waitcnt vmcnt(5)
	v_div_scale_f64 v[9:10], s[0:1], v[1:2], v[1:2], 1.0
	s_not_b32 s0, s7
	s_mul_i32 s6, s36, s0
	s_sub_i32 s36, s37, s36
	s_add_i32 s7, s7, 1
	s_add_i32 s36, s36, 1
	s_sub_i32 s0, s39, s38
	s_mul_i32 s18, s36, s7
	s_add_i32 s2, s0, 1
	s_waitcnt vmcnt(4)
	v_div_scale_f64 v[13:14], s[0:1], v[5:6], v[5:6], 1.0
	v_mul_lo_u32 v32, v19, s18
	v_mul_lo_u32 v31, v21, s7
	s_mul_i32 s0, s18, s38
	s_add_i32 s0, s22, s0
	v_rcp_f64_e32 v[11:12], v[9:10]
	s_mul_i32 s17, s2, s18
	s_sub_i32 s2, s6, s0
	v_add3_u32 v62, v32, v31, s2
	v_add_u32_e32 v23, v62, v23
	v_add_u32_e32 v25, v62, v24
	v_ashrrev_i32_e32 v24, 31, v23
	v_ashrrev_i32_e32 v26, 31, v25
	v_div_scale_f64 v[29:30], s[0:1], 1.0, v[1:2], 1.0
	s_sub_i32 s31, s2, s17
	v_ashrrev_i32_e32 v48, 31, v31
	s_ashr_i32 s19, s17, 31
	v_add_u32_e32 v21, -2, v21
	s_lshl_b32 s21, s17, 1
	s_ashr_i32 s28, s21, 31
	v_fma_f64 v[19:20], -v[9:10], v[11:12], 1.0
	s_mul_i32 s29, s17, 3
	s_ashr_i32 s30, s29, 31
	v_fma_f64 v[11:12], v[11:12], v[19:20], v[11:12]
	v_lshlrev_b64 v[19:20], 3, v[23:24]
	v_lshlrev_b64 v[23:24], 3, v[25:26]
	v_rcp_f64_e32 v[25:26], v[13:14]
	v_add_co_u32_e32 v27, vcc, s10, v19
	v_addc_co_u32_e32 v28, vcc, v28, v20, vcc
	v_fma_f64 v[36:37], -v[9:10], v[11:12], 1.0
	v_add_co_u32_e32 v38, vcc, s12, v19
	v_addc_co_u32_e32 v39, vcc, v39, v20, vcc
	v_add_co_u32_e32 v46, vcc, s10, v23
	v_addc_co_u32_e32 v47, vcc, v41, v24, vcc
	v_fma_f64 v[11:12], v[11:12], v[36:37], v[11:12]
	v_add_co_u32_e32 v23, vcc, s12, v23
	v_fma_f64 v[19:20], -v[13:14], v[25:26], 1.0
	v_addc_co_u32_e32 v24, vcc, v42, v24, vcc
	v_add_u32_e32 v36, s2, v22
	s_ashr_i32 s2, s31, 31
	v_mul_f64 v[44:45], v[29:30], v[11:12]
	v_ashrrev_i32_e32 v41, 31, v32
	v_mov_b32_e32 v37, s19
	v_fma_f64 v[19:20], v[25:26], v[19:20], v[25:26]
	v_add_co_u32_e32 v25, vcc, s31, v22
	v_mov_b32_e32 v26, s2
	v_add_co_u32_e64 v42, s[2:3], v25, v31
	v_fma_f64 v[9:10], -v[9:10], v[44:45], v[29:30]
	v_addc_co_u32_e32 v0, vcc, v0, v26, vcc
	v_addc_co_u32_e64 v0, vcc, v0, v48, s[2:3]
	s_mov_b64 vcc, s[0:1]
	v_add_u32_e32 v25, v62, v34
	v_ashrrev_i32_e32 v26, 31, v25
	s_nop 0
	v_div_fmas_f64 v[9:10], v[9:10], v[11:12], v[44:45]
	v_fma_f64 v[11:12], -v[13:14], v[19:20], 1.0
	v_div_scale_f64 v[29:30], vcc, 1.0, v[5:6], 1.0
	v_add_co_u32_e64 v42, s[0:1], v42, v32
	v_lshlrev_b64 v[25:26], 3, v[25:26]
	v_addc_co_u32_e64 v0, s[0:1], v0, v41, s[0:1]
	v_fma_f64 v[11:12], v[19:20], v[11:12], v[19:20]
	v_add_co_u32_e64 v48, s[0:1], s10, v25
	v_addc_co_u32_e64 v49, s[0:1], v49, v26, s[0:1]
	v_add_co_u32_e64 v25, s[0:1], s12, v25
	v_addc_co_u32_e64 v26, s[0:1], v50, v26, s[0:1]
	v_mul_f64 v[19:20], v[29:30], v[11:12]
	buffer_store_dword v9, off, s[44:47], 0 offset:32 ; 4-byte Folded Spill
	s_nop 0
	buffer_store_dword v10, off, s[44:47], 0 offset:36 ; 4-byte Folded Spill
	v_add_co_u32_e64 v50, s[0:1], s17, v42
	v_addc_co_u32_e64 v51, s[0:1], v0, v37, s[0:1]
	v_add_u32_e32 v9, v31, v36
	v_add_u32_e32 v0, s31, v22
	v_fma_f64 v[29:30], -v[13:14], v[19:20], v[29:30]
	buffer_store_dword v9, off, s[44:47], 0 ; 4-byte Folded Spill
	v_add_u32_e32 v13, v9, v32
	v_add_u32_e32 v9, v31, v0
	buffer_store_dword v9, off, s[44:47], 0 offset:16 ; 4-byte Folded Spill
	v_add_u32_e32 v43, v9, v32
	v_ashrrev_i32_e32 v14, 31, v13
	v_lshlrev_b64 v[13:14], 3, v[13:14]
	v_div_fmas_f64 v[9:10], v[29:30], v[11:12], v[19:20]
	v_lshlrev_b64 v[50:51], 3, v[50:51]
	v_mov_b32_e32 v31, s15
	v_add_co_u32_e64 v50, s[0:1], s14, v50
	v_addc_co_u32_e64 v51, s[0:1], v40, v51, s[0:1]
	s_mov_b32 s2, 0
	s_mov_b32 s3, 0x40080000
	buffer_store_dword v9, off, s[44:47], 0 offset:40 ; 4-byte Folded Spill
	s_nop 0
	buffer_store_dword v10, off, s[44:47], 0 offset:44 ; 4-byte Folded Spill
	buffer_store_dword v13, off, s[44:47], 0 offset:344 ; 4-byte Folded Spill
	s_nop 0
	buffer_store_dword v14, off, s[44:47], 0 offset:348 ; 4-byte Folded Spill
	v_add_co_u32_e32 v19, vcc, s10, v13
	v_add_co_u32_e64 v29, s[0:1], s12, v13
	v_addc_co_u32_e32 v20, vcc, v33, v14, vcc
	v_addc_co_u32_e64 v30, vcc, v52, v14, s[0:1]
	global_load_dwordx2 v[19:20], v[19:20], off
	s_nop 0
	global_load_dwordx2 v[29:30], v[29:30], off
	s_nop 0
	global_load_dwordx2 v[27:28], v[27:28], off
	v_add_u32_e32 v52, s17, v43
	v_ashrrev_i32_e32 v53, 31, v52
	v_lshlrev_b64 v[40:41], 3, v[52:53]
	s_mov_b32 s0, 0
	v_add_co_u32_e32 v52, vcc, s14, v40
	v_addc_co_u32_e32 v53, vcc, v31, v41, vcc
	v_add_co_u32_e32 v60, vcc, s8, v40
	s_mov_b32 s1, 0xbfe80000
	v_mul_lo_u32 v31, v21, s7
	s_waitcnt vmcnt(0)
	buffer_store_dword v27, off, s[44:47], 0 offset:264 ; 4-byte Folded Spill
	s_nop 0
	buffer_store_dword v28, off, s[44:47], 0 offset:268 ; 4-byte Folded Spill
	global_load_dwordx2 v[13:14], v[38:39], off
	global_load_dwordx2 v[33:34], v[46:47], off
	s_waitcnt vmcnt(0)
	buffer_store_dword v33, off, s[44:47], 0 offset:256 ; 4-byte Folded Spill
	s_nop 0
	buffer_store_dword v34, off, s[44:47], 0 offset:260 ; 4-byte Folded Spill
	global_load_dwordx2 v[9:10], v[23:24], off
	global_load_dwordx2 v[37:38], v[48:49], off
	v_fma_f64 v[23:24], v[19:20], 2.0, v[29:30]
	s_waitcnt vmcnt(0)
	buffer_store_dword v37, off, s[44:47], 0 offset:216 ; 4-byte Folded Spill
	s_nop 0
	buffer_store_dword v38, off, s[44:47], 0 offset:220 ; 4-byte Folded Spill
	global_load_dwordx4 v[44:47], v[52:53], off
	global_load_dwordx2 v[11:12], v[25:26], off
	s_waitcnt vmcnt(1)
	buffer_store_dword v44, off, s[44:47], 0 offset:200 ; 4-byte Folded Spill
	s_nop 0
	buffer_store_dword v45, off, s[44:47], 0 offset:204 ; 4-byte Folded Spill
	buffer_store_dword v46, off, s[44:47], 0 offset:208 ; 4-byte Folded Spill
	;; [unrolled: 1-line block ×3, first 2 shown]
	global_load_dwordx4 v[48:51], v[50:51], off offset:-16
	s_waitcnt vmcnt(0)
	buffer_store_dword v48, off, s[44:47], 0 offset:88 ; 4-byte Folded Spill
	s_nop 0
	buffer_store_dword v49, off, s[44:47], 0 offset:92 ; 4-byte Folded Spill
	buffer_store_dword v50, off, s[44:47], 0 offset:96 ; 4-byte Folded Spill
	;; [unrolled: 1-line block ×4, first 2 shown]
	s_nop 0
	buffer_store_dword v14, off, s[44:47], 0 offset:228 ; 4-byte Folded Spill
	v_mul_f64 v[23:24], v[23:24], v[44:45]
	v_mul_f64 v[29:30], v[44:45], v[23:24]
	v_add3_u32 v44, v31, v0, v32
	v_add_u32_e32 v21, s17, v44
	v_mul_f64 v[54:55], v[5:6], v[29:30]
	v_fma_f64 v[13:14], v[27:28], 2.0, v[13:14]
	buffer_store_dword v13, off, s[44:47], 0 offset:800 ; 4-byte Folded Spill
	s_nop 0
	buffer_store_dword v14, off, s[44:47], 0 offset:804 ; 4-byte Folded Spill
	buffer_store_dword v11, off, s[44:47], 0 offset:696 ; 4-byte Folded Spill
	s_nop 0
	buffer_store_dword v12, off, s[44:47], 0 offset:700 ; 4-byte Folded Spill
	v_mul_f64 v[25:26], v[13:14], v[48:49]
	v_fma_f64 v[11:12], v[37:38], 2.0, v[11:12]
	buffer_store_dword v11, off, s[44:47], 0 offset:704 ; 4-byte Folded Spill
	s_nop 0
	buffer_store_dword v12, off, s[44:47], 0 offset:708 ; 4-byte Folded Spill
	buffer_store_dword v9, off, s[44:47], 0 offset:80 ; 4-byte Folded Spill
	s_nop 0
	buffer_store_dword v10, off, s[44:47], 0 offset:84 ; 4-byte Folded Spill
	v_mul_f64 v[27:28], v[48:49], v[25:26]
	v_mul_f64 v[23:24], v[11:12], v[46:47]
	v_fma_f64 v[9:10], v[33:34], 2.0, v[9:10]
	buffer_store_dword v9, off, s[44:47], 0 offset:768 ; 4-byte Folded Spill
	s_nop 0
	buffer_store_dword v10, off, s[44:47], 0 offset:772 ; 4-byte Folded Spill
	v_mul_f64 v[47:48], v[46:47], v[23:24]
	v_mul_f64 v[56:57], v[7:8], v[47:48]
	;; [unrolled: 1-line block ×3, first 2 shown]
	global_load_dwordx4 v[9:12], v[17:18], off offset:-16
	s_waitcnt vmcnt(0)
	buffer_store_dword v9, off, s[44:47], 0 offset:48 ; 4-byte Folded Spill
	s_nop 0
	buffer_store_dword v10, off, s[44:47], 0 offset:52 ; 4-byte Folded Spill
	buffer_store_dword v11, off, s[44:47], 0 offset:56 ; 4-byte Folded Spill
	;; [unrolled: 1-line block ×4, first 2 shown]
	s_nop 0
	buffer_store_dword v41, off, s[44:47], 0 offset:580 ; 4-byte Folded Spill
	v_mul_f64 v[49:50], v[50:51], v[23:24]
	v_fma_f64 v[23:24], v[9:10], v[27:28], v[56:57]
	v_fma_f64 v[25:26], v[11:12], v[49:50], v[54:55]
	v_mul_f64 v[49:50], v[11:12], v[49:50]
	v_fma_f64 v[27:28], v[9:10], v[27:28], v[54:55]
	v_add_u32_e32 v9, 2, v22
	v_mov_b32_e32 v22, s11
	v_fma_f64 v[58:59], v[25:26], s[2:3], v[23:24]
	v_mov_b32_e32 v23, s9
	v_addc_co_u32_e32 v61, vcc, v23, v41, vcc
	global_load_dwordx4 v[37:40], v[60:61], off
	global_load_dwordx4 v[23:26], v[60:61], off offset:-16
	v_fma_f64 v[27:28], v[27:28], s[0:1], v[49:50]
	buffer_store_dword v9, off, s[44:47], 0 offset:320 ; 4-byte Folded Spill
	v_add_u32_e32 v41, s7, v31
	v_lshl_add_u32 v42, s7, 1, v41
	v_add3_u32 v35, v42, v0, v32
	s_waitcnt vmcnt(1)
	v_add_f64 v[25:26], v[25:26], -v[37:38]
	v_add_f64 v[23:24], v[23:24], -v[37:38]
	v_mul_f64 v[25:26], v[58:59], v[25:26]
	v_fma_f64 v[23:24], v[27:28], v[23:24], v[25:26]
	v_add_u32_e32 v25, v62, v9
	v_ashrrev_i32_e32 v26, 31, v25
	v_lshlrev_b64 v[25:26], 3, v[25:26]
	v_add_co_u32_e32 v27, vcc, s10, v25
	v_addc_co_u32_e32 v28, vcc, v22, v26, vcc
	global_load_dwordx2 v[13:14], v[27:28], off
	v_mov_b32_e32 v22, s13
	v_add_co_u32_e32 v25, vcc, s12, v25
	v_addc_co_u32_e32 v26, vcc, v22, v26, vcc
	v_fma_f64 v[27:28], v[7:8], v[47:48], v[54:55]
	s_waitcnt vmcnt(0)
	buffer_store_dword v13, off, s[44:47], 0 offset:248 ; 4-byte Folded Spill
	s_nop 0
	buffer_store_dword v14, off, s[44:47], 0 offset:252 ; 4-byte Folded Spill
	global_load_dwordx2 v[9:10], v[25:26], off
	s_nop 0
	global_load_dwordx2 v[25:26], v[52:53], off offset:16
	global_load_dwordx2 v[11:12], v[17:18], off offset:16
	s_waitcnt vmcnt(2)
	buffer_store_dword v9, off, s[44:47], 0 offset:736 ; 4-byte Folded Spill
	s_nop 0
	buffer_store_dword v10, off, s[44:47], 0 offset:740 ; 4-byte Folded Spill
	v_fma_f64 v[9:10], v[13:14], 2.0, v[9:10]
	buffer_store_dword v9, off, s[44:47], 0 offset:752 ; 4-byte Folded Spill
	s_nop 0
	buffer_store_dword v10, off, s[44:47], 0 offset:756 ; 4-byte Folded Spill
	s_waitcnt vmcnt(5)
	buffer_store_dword v25, off, s[44:47], 0 offset:232 ; 4-byte Folded Spill
	s_nop 0
	buffer_store_dword v26, off, s[44:47], 0 offset:236 ; 4-byte Folded Spill
	s_waitcnt vmcnt(6)
	buffer_store_dword v11, off, s[44:47], 0 offset:240 ; 4-byte Folded Spill
	s_nop 0
	buffer_store_dword v12, off, s[44:47], 0 offset:244 ; 4-byte Folded Spill
	v_add3_u32 v13, v41, v0, v32
	v_mul_f64 v[17:18], v[9:10], v[25:26]
	v_mul_f64 v[17:18], v[25:26], v[17:18]
	v_fma_f64 v[25:26], v[11:12], v[17:18], v[49:50]
	v_fma_f64 v[17:18], v[11:12], v[17:18], v[54:55]
	;; [unrolled: 1-line block ×3, first 2 shown]
	v_add_f64 v[27:28], v[39:40], -v[37:38]
	v_fma_f64 v[17:18], v[17:18], s[0:1], v[56:57]
	v_fma_f64 v[22:23], v[25:26], v[27:28], v[23:24]
	global_load_dwordx2 v[24:25], v[60:61], off offset:16
	s_waitcnt vmcnt(0)
	v_add_f64 v[24:25], v[24:25], -v[37:38]
	v_fma_f64 v[9:10], v[17:18], v[24:25], v[22:23]
	v_ashrrev_i32_e32 v22, 31, v21
	v_lshlrev_b64 v[39:40], 3, v[21:22]
	v_add_u32_e32 v23, s17, v13
	v_ashrrev_i32_e32 v24, 31, v23
	v_mov_b32_e32 v22, s9
	v_add_co_u32_e32 v21, vcc, s8, v39
	v_lshlrev_b64 v[47:48], 3, v[23:24]
	v_add_u32_e32 v25, s17, v35
	v_add_u32_e32 v17, s7, v42
	v_addc_co_u32_e32 v22, vcc, v22, v40, vcc
	v_ashrrev_i32_e32 v26, 31, v25
	v_add3_u32 v45, v17, v0, v32
	v_mov_b32_e32 v24, s9
	v_add_co_u32_e32 v23, vcc, s8, v47
	v_lshlrev_b64 v[49:50], 3, v[25:26]
	v_add_u32_e32 v27, s17, v45
	v_addc_co_u32_e32 v24, vcc, v24, v48, vcc
	v_ashrrev_i32_e32 v28, 31, v27
	v_mov_b32_e32 v26, s9
	v_add_co_u32_e32 v25, vcc, s8, v49
	v_lshlrev_b64 v[52:53], 3, v[27:28]
	v_addc_co_u32_e32 v26, vcc, v26, v50, vcc
	buffer_store_dword v9, off, s[44:47], 0 offset:352 ; 4-byte Folded Spill
	s_nop 0
	buffer_store_dword v10, off, s[44:47], 0 offset:356 ; 4-byte Folded Spill
	v_mov_b32_e32 v0, s9
	v_add_co_u32_e32 v27, vcc, s8, v52
	v_addc_co_u32_e32 v28, vcc, v0, v53, vcc
	global_load_dwordx2 v[21:22], v[21:22], off
	s_nop 0
	global_load_dwordx2 v[23:24], v[23:24], off
	s_nop 0
	global_load_dwordx2 v[54:55], v[25:26], off
	global_load_dwordx2 v[56:57], v[27:28], off
	v_mov_b32_e32 v0, s15
	s_waitcnt vmcnt(3)
	v_add_f64 v[9:10], v[21:22], -v[37:38]
	buffer_store_dword v9, off, s[44:47], 0 offset:376 ; 4-byte Folded Spill
	s_nop 0
	buffer_store_dword v10, off, s[44:47], 0 offset:380 ; 4-byte Folded Spill
	s_waitcnt vmcnt(4)
	v_add_f64 v[9:10], v[23:24], -v[37:38]
	buffer_store_dword v9, off, s[44:47], 0 offset:384 ; 4-byte Folded Spill
	s_nop 0
	buffer_store_dword v10, off, s[44:47], 0 offset:388 ; 4-byte Folded Spill
	;; [unrolled: 5-line block ×3, first 2 shown]
	s_waitcnt vmcnt(6)
	v_add_f64 v[9:10], v[56:57], -v[37:38]
	v_add_co_u32_e32 v37, vcc, s14, v39
	v_addc_co_u32_e32 v38, vcc, v0, v40, vcc
	v_add_co_u32_e32 v39, vcc, s14, v47
	v_addc_co_u32_e32 v40, vcc, v0, v48, vcc
	;; [unrolled: 2-line block ×3, first 2 shown]
	v_add_u32_e32 v0, v32, v31
	v_add_u32_e32 v49, v0, v36
	v_ashrrev_i32_e32 v50, 31, v49
	v_lshlrev_b64 v[49:50], 3, v[49:50]
	buffer_store_dword v9, off, s[44:47], 0 offset:360 ; 4-byte Folded Spill
	s_nop 0
	buffer_store_dword v10, off, s[44:47], 0 offset:364 ; 4-byte Folded Spill
	buffer_store_dword v0, off, s[44:47], 0 offset:312 ; 4-byte Folded Spill
	v_mov_b32_e32 v0, s11
	v_add_co_u32_e32 v54, vcc, s10, v49
	v_addc_co_u32_e32 v55, vcc, v0, v50, vcc
	global_load_dwordx2 v[21:22], v[54:55], off
	v_mov_b32_e32 v0, s13
	v_add_co_u32_e32 v56, vcc, s12, v49
	v_addc_co_u32_e32 v57, vcc, v0, v50, vcc
	v_add_u32_e32 v0, v32, v41
	v_add_u32_e32 v58, v0, v36
	v_ashrrev_i32_e32 v59, 31, v58
	v_lshlrev_b64 v[58:59], 3, v[58:59]
	buffer_store_dword v0, off, s[44:47], 0 offset:272 ; 4-byte Folded Spill
	v_mov_b32_e32 v0, s11
	v_add_co_u32_e32 v60, vcc, s10, v58
	v_addc_co_u32_e32 v61, vcc, v0, v59, vcc
	v_mov_b32_e32 v0, s13
	v_add_co_u32_e32 v58, vcc, s12, v58
	v_addc_co_u32_e32 v59, vcc, v0, v59, vcc
	v_add_u32_e32 v0, v32, v42
	v_add_u32_e32 v62, v0, v36
	v_ashrrev_i32_e32 v63, 31, v62
	v_lshlrev_b64 v[62:63], 3, v[62:63]
	buffer_store_dword v0, off, s[44:47], 0 offset:280 ; 4-byte Folded Spill
	v_mov_b32_e32 v0, s11
	v_add_co_u32_e32 v41, vcc, s10, v62
	s_waitcnt vmcnt(2)
	buffer_store_dword v21, off, s[44:47], 0 offset:160 ; 4-byte Folded Spill
	s_nop 0
	buffer_store_dword v22, off, s[44:47], 0 offset:164 ; 4-byte Folded Spill
	v_addc_co_u32_e32 v42, vcc, v0, v63, vcc
	global_load_dwordx2 v[49:50], v[56:57], off
	global_load_dwordx2 v[25:26], v[37:38], off
	;; [unrolled: 1-line block ×3, first 2 shown]
	v_mov_b32_e32 v0, s13
	v_add_co_u32_e32 v62, vcc, s12, v62
	v_addc_co_u32_e32 v63, vcc, v0, v63, vcc
	v_mul_f64 v[56:57], v[1:2], v[29:30]
	v_mov_b32_e32 v0, s9
	s_waitcnt vmcnt(0)
	buffer_store_dword v23, off, s[44:47], 0 offset:128 ; 4-byte Folded Spill
	s_nop 0
	buffer_store_dword v24, off, s[44:47], 0 offset:132 ; 4-byte Folded Spill
	global_load_dwordx2 v[9:10], v[62:63], off
	s_nop 0
	global_load_dwordx2 v[46:47], v[47:48], off
	s_nop 0
	global_load_dwordx2 v[33:34], v[60:61], off
	v_add_u32_e32 v62, s21, v43
	v_ashrrev_i32_e32 v63, 31, v62
	s_waitcnt vmcnt(0)
	buffer_store_dword v33, off, s[44:47], 0 offset:136 ; 4-byte Folded Spill
	s_nop 0
	buffer_store_dword v34, off, s[44:47], 0 offset:140 ; 4-byte Folded Spill
	global_load_dwordx2 v[11:12], v[58:59], off
	global_load_dwordx2 v[27:28], v[39:40], off
	s_nop 0
	buffer_store_dword v49, off, s[44:47], 0 offset:168 ; 4-byte Folded Spill
	s_nop 0
	buffer_store_dword v50, off, s[44:47], 0 offset:172 ; 4-byte Folded Spill
	v_fma_f64 v[37:38], v[21:22], 2.0, v[49:50]
	buffer_store_dword v37, off, s[44:47], 0 offset:624 ; 4-byte Folded Spill
	s_nop 0
	buffer_store_dword v38, off, s[44:47], 0 offset:628 ; 4-byte Folded Spill
	buffer_store_dword v25, off, s[44:47], 0 offset:72 ; 4-byte Folded Spill
	s_nop 0
	buffer_store_dword v26, off, s[44:47], 0 offset:76 ; 4-byte Folded Spill
	;; [unrolled: 3-line block ×3, first 2 shown]
	v_mul_f64 v[37:38], v[25:26], v[37:38]
	v_fma_f64 v[9:10], v[23:24], 2.0, v[9:10]
	buffer_store_dword v9, off, s[44:47], 0 offset:616 ; 4-byte Folded Spill
	s_nop 0
	buffer_store_dword v10, off, s[44:47], 0 offset:620 ; 4-byte Folded Spill
	buffer_store_dword v46, off, s[44:47], 0 offset:64 ; 4-byte Folded Spill
	s_nop 0
	buffer_store_dword v47, off, s[44:47], 0 offset:68 ; 4-byte Folded Spill
	s_waitcnt vmcnt(13)
	buffer_store_dword v11, off, s[44:47], 0 offset:152 ; 4-byte Folded Spill
	s_nop 0
	buffer_store_dword v12, off, s[44:47], 0 offset:156 ; 4-byte Folded Spill
	v_mul_f64 v[41:42], v[25:26], v[37:38]
	v_mul_f64 v[37:38], v[46:47], v[9:10]
	v_fma_f64 v[9:10], v[33:34], 2.0, v[11:12]
	buffer_store_dword v9, off, s[44:47], 0 offset:608 ; 4-byte Folded Spill
	s_nop 0
	buffer_store_dword v10, off, s[44:47], 0 offset:612 ; 4-byte Folded Spill
	global_load_dwordx4 v[21:24], v[15:16], off offset:-16
	v_mul_f64 v[48:49], v[46:47], v[37:38]
	v_mul_f64 v[58:59], v[3:4], v[48:49]
	v_fma_f64 v[48:49], v[3:4], v[48:49], v[56:57]
	s_waitcnt vmcnt(17)
	v_mul_f64 v[37:38], v[27:28], v[9:10]
	s_waitcnt vmcnt(0)
	v_fma_f64 v[29:30], v[21:22], v[41:42], v[58:59]
	v_fma_f64 v[41:42], v[21:22], v[41:42], v[56:57]
	v_mul_f64 v[54:55], v[27:28], v[37:38]
	v_fma_f64 v[37:38], v[23:24], v[54:55], v[56:57]
	v_mul_f64 v[54:55], v[23:24], v[54:55]
	v_fma_f64 v[60:61], v[37:38], s[2:3], v[29:30]
	v_lshlrev_b64 v[29:30], 3, v[62:63]
	v_fma_f64 v[41:42], v[41:42], s[0:1], v[54:55]
	v_add_co_u32_e32 v50, vcc, s8, v29
	buffer_store_dword v29, off, s[44:47], 0 offset:104 ; 4-byte Folded Spill
	s_nop 0
	buffer_store_dword v30, off, s[44:47], 0 offset:108 ; 4-byte Folded Spill
	v_add_u32_e32 v29, s21, v13
	buffer_store_dword v13, off, s[44:47], 0 offset:648 ; 4-byte Folded Spill
	v_addc_co_u32_e32 v51, vcc, v0, v30, vcc
	v_ashrrev_i32_e32 v30, 31, v29
	v_lshlrev_b64 v[13:14], 3, v[29:30]
	v_add_co_u32_e32 v30, vcc, s8, v13
	buffer_store_dword v13, off, s[44:47], 0 offset:640 ; 4-byte Folded Spill
	s_nop 0
	buffer_store_dword v14, off, s[44:47], 0 offset:644 ; 4-byte Folded Spill
	v_addc_co_u32_e32 v31, vcc, v0, v14, vcc
	global_load_dwordx2 v[30:31], v[30:31], off
	s_nop 0
	global_load_dwordx4 v[37:40], v[50:51], off offset:-8
	s_waitcnt vmcnt(0)
	v_add_f64 v[30:31], v[30:31], -v[39:40]
	buffer_store_dword v44, off, s[44:47], 0 offset:652 ; 4-byte Folded Spill
	v_mul_f64 v[60:61], v[30:31], v[60:61]
	v_add_u32_e32 v30, s21, v44
	v_ashrrev_i32_e32 v31, 31, v30
	v_lshlrev_b64 v[13:14], 3, v[30:31]
	v_add_co_u32_e32 v46, vcc, s8, v13
	buffer_store_dword v13, off, s[44:47], 0 offset:744 ; 4-byte Folded Spill
	s_nop 0
	buffer_store_dword v14, off, s[44:47], 0 offset:748 ; 4-byte Folded Spill
	v_addc_co_u32_e32 v47, vcc, v0, v14, vcc
	global_load_dwordx2 v[46:47], v[46:47], off
	v_mov_b32_e32 v0, s15
	v_add_co_u32_e32 v52, vcc, s14, v52
	v_addc_co_u32_e32 v53, vcc, v0, v53, vcc
	v_add_u32_e32 v0, v32, v17
	v_add_u32_e32 v31, v0, v36
	v_ashrrev_i32_e32 v32, 31, v31
	v_lshlrev_b64 v[31:32], 3, v[31:32]
	buffer_store_dword v0, off, s[44:47], 0 offset:328 ; 4-byte Folded Spill
	v_mov_b32_e32 v0, s11
	s_waitcnt vmcnt(1)
	v_add_f64 v[46:47], v[46:47], -v[39:40]
	v_fma_f64 v[41:42], v[46:47], v[41:42], v[60:61]
	v_add_co_u32_e32 v60, vcc, s10, v31
	v_addc_co_u32_e32 v61, vcc, v0, v32, vcc
	global_load_dwordx2 v[9:10], v[60:61], off
	v_mov_b32_e32 v0, s13
	v_add_co_u32_e32 v31, vcc, s12, v31
	v_addc_co_u32_e32 v32, vcc, v0, v32, vcc
	s_waitcnt vmcnt(0)
	buffer_store_dword v9, off, s[44:47], 0 offset:192 ; 4-byte Folded Spill
	s_nop 0
	buffer_store_dword v10, off, s[44:47], 0 offset:196 ; 4-byte Folded Spill
	global_load_dwordx2 v[31:32], v[31:32], off
	s_nop 0
	global_load_dwordx2 v[17:18], v[52:53], off
	global_load_dwordx2 v[33:34], v[15:16], off offset:16
	s_waitcnt vmcnt(2)
	buffer_store_dword v31, off, s[44:47], 0 offset:184 ; 4-byte Folded Spill
	s_nop 0
	buffer_store_dword v32, off, s[44:47], 0 offset:188 ; 4-byte Folded Spill
	v_mov_b32_e32 v0, s9
	v_fma_f64 v[15:16], v[9:10], 2.0, v[31:32]
	buffer_store_dword v15, off, s[44:47], 0 offset:680 ; 4-byte Folded Spill
	s_nop 0
	buffer_store_dword v16, off, s[44:47], 0 offset:684 ; 4-byte Folded Spill
	buffer_store_dword v35, off, s[44:47], 0 offset:656 ; 4-byte Folded Spill
	s_waitcnt vmcnt(6)
	v_mul_f64 v[15:16], v[17:18], v[15:16]
	v_mul_f64 v[15:16], v[17:18], v[15:16]
	s_waitcnt vmcnt(5)
	v_fma_f64 v[31:32], v[33:34], v[15:16], v[54:55]
	v_fma_f64 v[15:16], v[33:34], v[15:16], v[56:57]
	;; [unrolled: 1-line block ×3, first 2 shown]
	v_add_u32_e32 v31, s21, v35
	v_ashrrev_i32_e32 v32, 31, v31
	v_lshlrev_b64 v[35:36], 3, v[31:32]
	v_fma_f64 v[15:16], v[15:16], s[0:1], v[58:59]
	v_add_co_u32_e32 v52, vcc, s8, v35
	buffer_store_dword v35, off, s[44:47], 0 offset:668 ; 4-byte Folded Spill
	s_nop 0
	buffer_store_dword v36, off, s[44:47], 0 offset:672 ; 4-byte Folded Spill
	buffer_store_dword v45, off, s[44:47], 0 offset:676 ; 4-byte Folded Spill
	v_addc_co_u32_e32 v53, vcc, v0, v36, vcc
	global_load_dwordx2 v[52:53], v[52:53], off
	s_waitcnt vmcnt(0)
	v_add_f64 v[52:53], v[52:53], -v[39:40]
	v_fma_f64 v[41:42], v[52:53], v[48:49], v[41:42]
	v_add_u32_e32 v48, s21, v45
	v_ashrrev_i32_e32 v49, 31, v48
	v_lshlrev_b64 v[35:36], 3, v[48:49]
	v_add_co_u32_e32 v52, vcc, s8, v35
	buffer_store_dword v35, off, s[44:47], 0 offset:760 ; 4-byte Folded Spill
	s_nop 0
	buffer_store_dword v36, off, s[44:47], 0 offset:764 ; 4-byte Folded Spill
	v_addc_co_u32_e32 v53, vcc, v0, v36, vcc
	global_load_dwordx2 v[52:53], v[52:53], off
	v_mov_b32_e32 v0, s28
	v_add_f64 v[36:37], v[37:38], -v[39:40]
	s_waitcnt vmcnt(0)
	v_add_f64 v[52:53], v[52:53], -v[39:40]
	v_fma_f64 v[9:10], v[52:53], v[15:16], v[41:42]
	buffer_store_dword v9, off, s[44:47], 0 offset:392 ; 4-byte Folded Spill
	s_nop 0
	buffer_store_dword v10, off, s[44:47], 0 offset:396 ; 4-byte Folded Spill
	v_ashrrev_i32_e32 v9, 31, v43
	v_add_co_u32_e32 v41, vcc, s21, v43
	v_addc_co_u32_e32 v42, vcc, v9, v0, vcc
	v_lshlrev_b64 v[41:42], 3, v[41:42]
	v_mov_b32_e32 v0, s9
	v_add_co_u32_e32 v41, vcc, s8, v41
	v_addc_co_u32_e32 v42, vcc, v0, v42, vcc
	v_mov_b32_e32 v0, s30
	buffer_store_dword v43, off, s[44:47], 0 offset:528 ; 4-byte Folded Spill
	v_add_co_u32_e32 v52, vcc, s29, v43
	buffer_store_dword v9, off, s[44:47], 0 offset:544 ; 4-byte Folded Spill
	v_addc_co_u32_e32 v53, vcc, v9, v0, vcc
	buffer_load_dword v11, off, s[44:47], 0 offset:200 ; 4-byte Folded Reload
	buffer_load_dword v12, off, s[44:47], 0 offset:204 ; 4-byte Folded Reload
	buffer_load_dword v13, off, s[44:47], 0 offset:208 ; 4-byte Folded Reload
	buffer_load_dword v14, off, s[44:47], 0 offset:212 ; 4-byte Folded Reload
	buffer_load_dword v43, off, s[44:47], 0 offset:88 ; 4-byte Folded Reload
	buffer_load_dword v44, off, s[44:47], 0 offset:92 ; 4-byte Folded Reload
	buffer_load_dword v45, off, s[44:47], 0 offset:96 ; 4-byte Folded Reload
	buffer_load_dword v46, off, s[44:47], 0 offset:100 ; 4-byte Folded Reload
	buffer_load_dword v9, off, s[44:47], 0 offset:264 ; 4-byte Folded Reload
	buffer_load_dword v10, off, s[44:47], 0 offset:268 ; 4-byte Folded Reload
	v_lshlrev_b64 v[52:53], 3, v[52:53]
	v_mov_b32_e32 v0, s9
	v_add_co_u32_e32 v56, vcc, s8, v52
	v_addc_co_u32_e32 v57, vcc, v0, v53, vcc
	s_waitcnt vmcnt(8)
	v_mul_f64 v[19:20], v[19:20], v[11:12]
	s_waitcnt vmcnt(0)
	v_mul_f64 v[52:53], v[9:10], v[43:44]
	buffer_load_dword v9, off, s[44:47], 0 offset:216 ; 4-byte Folded Reload
	buffer_load_dword v10, off, s[44:47], 0 offset:220 ; 4-byte Folded Reload
	v_mul_f64 v[19:20], v[11:12], v[19:20]
	v_mul_f64 v[11:12], v[43:44], v[52:53]
	;; [unrolled: 1-line block ×4, first 2 shown]
	s_waitcnt vmcnt(0)
	v_mul_f64 v[52:53], v[9:10], v[13:14]
	buffer_load_dword v9, off, s[44:47], 0 offset:256 ; 4-byte Folded Reload
	buffer_load_dword v10, off, s[44:47], 0 offset:260 ; 4-byte Folded Reload
	v_mul_f64 v[13:14], v[13:14], v[52:53]
	v_mul_f64 v[58:59], v[7:8], v[13:14]
	s_waitcnt vmcnt(0)
	v_mul_f64 v[52:53], v[9:10], v[45:46]
	v_mul_f64 v[9:10], v[45:46], v[52:53]
	buffer_load_dword v43, off, s[44:47], 0 offset:48 ; 4-byte Folded Reload
	buffer_load_dword v44, off, s[44:47], 0 offset:52 ; 4-byte Folded Reload
	;; [unrolled: 1-line block ×4, first 2 shown]
	s_waitcnt vmcnt(2)
	v_fma_f64 v[52:53], v[43:44], v[11:12], v[58:59]
	global_load_dwordx2 v[41:42], v[41:42], off offset:-16
	s_waitcnt vmcnt(1)
	v_fma_f64 v[54:55], v[45:46], v[9:10], v[60:61]
	v_fma_f64 v[15:16], v[54:55], s[2:3], v[52:53]
	global_load_dwordx4 v[52:55], v[50:51], off offset:8
	s_nop 0
	buffer_store_dword v9, off, s[44:47], 0 offset:784 ; 4-byte Folded Spill
	s_nop 0
	buffer_store_dword v10, off, s[44:47], 0 offset:788 ; 4-byte Folded Spill
	buffer_store_dword v11, off, s[44:47], 0 offset:792 ; 4-byte Folded Spill
	s_nop 0
	buffer_store_dword v12, off, s[44:47], 0 offset:796 ; 4-byte Folded Spill
	v_mul_f64 v[36:37], v[15:16], v[36:37]
	s_waitcnt vmcnt(5)
	v_add_f64 v[41:42], v[41:42], -v[39:40]
	s_waitcnt vmcnt(4)
	v_add_f64 v[49:50], v[52:53], -v[39:40]
	v_add_f64 v[25:26], v[54:55], -v[39:40]
	v_mul_f64 v[51:52], v[45:46], v[9:10]
	v_fma_f64 v[38:39], v[43:44], v[11:12], v[60:61]
	v_fma_f64 v[53:54], v[38:39], s[0:1], v[51:52]
	;; [unrolled: 1-line block ×3, first 2 shown]
	v_add_u32_e32 v36, s17, v62
	v_ashrrev_i32_e32 v37, 31, v36
	v_lshlrev_b64 v[36:37], 3, v[36:37]
	v_add_co_u32_e32 v62, vcc, s8, v36
	buffer_store_dword v36, off, s[44:47], 0 offset:112 ; 4-byte Folded Spill
	s_nop 0
	buffer_store_dword v37, off, s[44:47], 0 offset:116 ; 4-byte Folded Spill
	global_load_dwordx2 v[42:43], v[56:57], off offset:-16
	v_addc_co_u32_e32 v63, vcc, v0, v37, vcc
	global_load_dwordx4 v[36:39], v[62:63], off offset:-8
	buffer_load_dword v11, off, s[44:47], 0 offset:232 ; 4-byte Folded Reload
	buffer_load_dword v12, off, s[44:47], 0 offset:236 ; 4-byte Folded Reload
	;; [unrolled: 1-line block ×4, first 2 shown]
	s_waitcnt vmcnt(4)
	v_add_f64 v[36:37], v[36:37], -v[38:39]
	v_add_f64 v[42:43], v[42:43], -v[38:39]
	v_mul_f64 v[36:37], v[15:16], v[36:37]
	v_fma_f64 v[36:37], v[53:54], v[42:43], v[36:37]
	s_waitcnt vmcnt(0)
	v_mul_f64 v[42:43], v[9:10], v[11:12]
	v_mul_f64 v[9:10], v[11:12], v[42:43]
	buffer_load_dword v11, off, s[44:47], 0 offset:240 ; 4-byte Folded Reload
	buffer_load_dword v12, off, s[44:47], 0 offset:244 ; 4-byte Folded Reload
	s_nop 0
	buffer_store_dword v13, off, s[44:47], 0 offset:776 ; 4-byte Folded Spill
	s_nop 0
	buffer_store_dword v14, off, s[44:47], 0 offset:780 ; 4-byte Folded Spill
	s_waitcnt vmcnt(2)
	v_fma_f64 v[42:43], v[11:12], v[9:10], v[51:52]
	v_fma_f64 v[51:52], v[7:8], v[13:14], v[60:61]
	;; [unrolled: 1-line block ×3, first 2 shown]
	global_load_dwordx4 v[52:55], v[62:63], off offset:8
	s_nop 0
	buffer_store_dword v9, off, s[44:47], 0 offset:816 ; 4-byte Folded Spill
	s_nop 0
	buffer_store_dword v10, off, s[44:47], 0 offset:820 ; 4-byte Folded Spill
	v_fma_f64 v[40:41], v[42:43], v[49:50], v[40:41]
	s_waitcnt vmcnt(2)
	v_add_f64 v[49:50], v[52:53], -v[38:39]
	v_fma_f64 v[36:37], v[42:43], v[49:50], v[36:37]
	v_fma_f64 v[42:43], v[11:12], v[9:10], v[60:61]
	buffer_load_dword v11, off, s[44:47], 0 offset:72 ; 4-byte Folded Reload
	buffer_load_dword v12, off, s[44:47], 0 offset:76 ; 4-byte Folded Reload
	;; [unrolled: 1-line block ×4, first 2 shown]
	v_add_f64 v[49:50], v[54:55], -v[38:39]
	v_fma_f64 v[42:43], v[42:43], s[0:1], v[58:59]
	v_fma_f64 v[40:41], v[42:43], v[25:26], v[40:41]
	;; [unrolled: 1-line block ×3, first 2 shown]
	s_waitcnt vmcnt(0)
	v_mul_f64 v[42:43], v[9:10], v[11:12]
	v_mul_f64 v[13:14], v[11:12], v[42:43]
	buffer_load_dword v11, off, s[44:47], 0 offset:64 ; 4-byte Folded Reload
	buffer_load_dword v12, off, s[44:47], 0 offset:68 ; 4-byte Folded Reload
	;; [unrolled: 1-line block ×4, first 2 shown]
	s_waitcnt vmcnt(0)
	v_mul_f64 v[42:43], v[9:10], v[11:12]
	buffer_load_dword v9, off, s[44:47], 0 offset:136 ; 4-byte Folded Reload
	buffer_load_dword v10, off, s[44:47], 0 offset:140 ; 4-byte Folded Reload
	v_mul_f64 v[11:12], v[11:12], v[42:43]
	s_waitcnt vmcnt(0)
	v_mul_f64 v[42:43], v[9:10], v[27:28]
	buffer_store_dword v27, off, s[44:47], 0 offset:120 ; 4-byte Folded Spill
	s_nop 0
	buffer_store_dword v28, off, s[44:47], 0 offset:124 ; 4-byte Folded Spill
	v_mul_f64 v[9:10], v[27:28], v[42:43]
	v_mul_f64 v[42:43], v[3:4], v[11:12]
	v_fma_f64 v[49:50], v[23:24], v[9:10], v[19:20]
	buffer_store_dword v9, off, s[44:47], 0 offset:840 ; 4-byte Folded Spill
	s_nop 0
	buffer_store_dword v10, off, s[44:47], 0 offset:844 ; 4-byte Folded Spill
	v_fma_f64 v[46:47], v[21:22], v[13:14], v[42:43]
	v_fma_f64 v[46:47], v[49:50], s[2:3], v[46:47]
	v_mul_f64 v[49:50], v[23:24], v[9:10]
	buffer_store_dword v21, off, s[44:47], 0 offset:592 ; 4-byte Folded Spill
	s_nop 0
	buffer_store_dword v22, off, s[44:47], 0 offset:596 ; 4-byte Folded Spill
	buffer_store_dword v23, off, s[44:47], 0 offset:600 ; 4-byte Folded Spill
	buffer_store_dword v24, off, s[44:47], 0 offset:604 ; 4-byte Folded Spill
	buffer_store_dword v13, off, s[44:47], 0 offset:848 ; 4-byte Folded Spill
	s_nop 0
	buffer_store_dword v14, off, s[44:47], 0 offset:852 ; 4-byte Folded Spill
	buffer_load_dword v9, off, s[44:47], 0 offset:384 ; 4-byte Folded Reload
	buffer_load_dword v10, off, s[44:47], 0 offset:388 ; 4-byte Folded Reload
	v_fma_f64 v[51:52], v[21:22], v[13:14], v[19:20]
	s_waitcnt vmcnt(0)
	v_mul_f64 v[27:28], v[46:47], v[9:10]
	buffer_load_dword v9, off, s[44:47], 0 offset:376 ; 4-byte Folded Reload
	buffer_load_dword v10, off, s[44:47], 0 offset:380 ; 4-byte Folded Reload
	v_fma_f64 v[51:52], v[51:52], s[0:1], v[49:50]
	s_waitcnt vmcnt(0)
	v_fma_f64 v[25:26], v[51:52], v[9:10], v[27:28]
	v_add_u32_e32 v27, s17, v29
	v_ashrrev_i32_e32 v28, 31, v27
	v_lshlrev_b64 v[9:10], 3, v[27:28]
	v_add_u32_e32 v29, s17, v30
	v_add_co_u32_e32 v27, vcc, s8, v9
	buffer_store_dword v9, off, s[44:47], 0 offset:688 ; 4-byte Folded Spill
	s_nop 0
	buffer_store_dword v10, off, s[44:47], 0 offset:692 ; 4-byte Folded Spill
	v_ashrrev_i32_e32 v30, 31, v29
	v_addc_co_u32_e32 v28, vcc, v0, v10, vcc
	v_lshlrev_b64 v[9:10], 3, v[29:30]
	global_load_dwordx2 v[27:28], v[27:28], off
	v_add_co_u32_e32 v29, vcc, s8, v9
	buffer_store_dword v9, off, s[44:47], 0 offset:808 ; 4-byte Folded Spill
	s_nop 0
	buffer_store_dword v10, off, s[44:47], 0 offset:812 ; 4-byte Folded Spill
	s_waitcnt vmcnt(2)
	v_add_f64 v[27:28], v[27:28], -v[38:39]
	v_addc_co_u32_e32 v30, vcc, v0, v10, vcc
	global_load_dwordx2 v[29:30], v[29:30], off
	s_nop 0
	buffer_load_dword v9, off, s[44:47], 0 offset:192 ; 4-byte Folded Reload
	buffer_load_dword v10, off, s[44:47], 0 offset:196 ; 4-byte Folded Reload
	v_mul_f64 v[27:28], v[46:47], v[27:28]
	s_waitcnt vmcnt(2)
	v_add_f64 v[29:30], v[29:30], -v[38:39]
	v_fma_f64 v[27:28], v[51:52], v[29:30], v[27:28]
	s_waitcnt vmcnt(0)
	v_mul_f64 v[29:30], v[9:10], v[17:18]
	buffer_store_dword v17, off, s[44:47], 0 offset:176 ; 4-byte Folded Spill
	s_nop 0
	buffer_store_dword v18, off, s[44:47], 0 offset:180 ; 4-byte Folded Spill
	buffer_store_dword v11, off, s[44:47], 0 offset:832 ; 4-byte Folded Spill
	s_nop 0
	buffer_store_dword v12, off, s[44:47], 0 offset:836 ; 4-byte Folded Spill
	buffer_load_dword v9, off, s[44:47], 0 offset:368 ; 4-byte Folded Reload
	buffer_load_dword v10, off, s[44:47], 0 offset:372 ; 4-byte Folded Reload
	v_mul_f64 v[13:14], v[17:18], v[29:30]
	v_fma_f64 v[46:47], v[3:4], v[11:12], v[19:20]
	v_fma_f64 v[29:30], v[33:34], v[13:14], v[49:50]
	;; [unrolled: 1-line block ×3, first 2 shown]
	s_waitcnt vmcnt(0)
	v_fma_f64 v[23:24], v[29:30], v[9:10], v[25:26]
	v_add_u32_e32 v25, s17, v31
	v_ashrrev_i32_e32 v26, 31, v25
	v_lshlrev_b64 v[9:10], 3, v[25:26]
	v_add_co_u32_e32 v25, vcc, s8, v9
	buffer_store_dword v9, off, s[44:47], 0 offset:728 ; 4-byte Folded Spill
	s_nop 0
	buffer_store_dword v10, off, s[44:47], 0 offset:732 ; 4-byte Folded Spill
	v_addc_co_u32_e32 v26, vcc, v0, v10, vcc
	global_load_dwordx2 v[25:26], v[25:26], off
	s_waitcnt vmcnt(0)
	v_add_f64 v[25:26], v[25:26], -v[38:39]
	v_fma_f64 v[25:26], v[29:30], v[25:26], v[27:28]
	v_add_u32_e32 v27, s17, v48
	v_ashrrev_i32_e32 v28, 31, v27
	v_lshlrev_b64 v[9:10], 3, v[27:28]
	v_add_co_u32_e32 v27, vcc, s8, v9
	buffer_store_dword v9, off, s[44:47], 0 offset:824 ; 4-byte Folded Spill
	s_nop 0
	buffer_store_dword v10, off, s[44:47], 0 offset:828 ; 4-byte Folded Spill
	v_addc_co_u32_e32 v28, vcc, v0, v10, vcc
	global_load_dwordx2 v[27:28], v[27:28], off
	s_nop 0
	buffer_store_dword v33, off, s[44:47], 0 offset:660 ; 4-byte Folded Spill
	s_nop 0
	buffer_store_dword v34, off, s[44:47], 0 offset:664 ; 4-byte Folded Spill
	buffer_store_dword v13, off, s[44:47], 0 offset:856 ; 4-byte Folded Spill
	s_nop 0
	buffer_store_dword v14, off, s[44:47], 0 offset:860 ; 4-byte Folded Spill
	buffer_load_dword v9, off, s[44:47], 0 offset:360 ; 4-byte Folded Reload
	buffer_load_dword v10, off, s[44:47], 0 offset:364 ; 4-byte Folded Reload
	v_fma_f64 v[19:20], v[33:34], v[13:14], v[19:20]
	s_waitcnt vmcnt(6)
	v_add_f64 v[27:28], v[27:28], -v[38:39]
	v_fma_f64 v[19:20], v[19:20], s[0:1], v[42:43]
	s_load_dwordx4 s[0:3], s[4:5], 0x68
	s_waitcnt lgkmcnt(0)
	v_mov_b32_e32 v0, s1
	s_waitcnt vmcnt(0)
	v_fma_f64 v[21:22], v[19:20], v[9:10], v[23:24]
	buffer_load_dword v9, off, s[44:47], 0 offset:344 ; 4-byte Folded Reload
	buffer_load_dword v10, off, s[44:47], 0 offset:348 ; 4-byte Folded Reload
	v_fma_f64 v[19:20], v[19:20], v[27:28], v[25:26]
	s_waitcnt vmcnt(1)
	v_add_co_u32_e32 v13, vcc, s0, v9
	s_waitcnt vmcnt(0)
	v_addc_co_u32_e32 v14, vcc, v0, v10, vcc
	buffer_load_dword v9, off, s[44:47], 0 offset:32 ; 4-byte Folded Reload
	buffer_load_dword v10, off, s[44:47], 0 offset:36 ; 4-byte Folded Reload
	s_mov_b32 s0, 0x55555555
	s_mov_b32 s1, 0x3fc55555
	s_waitcnt vmcnt(0)
	v_div_fixup_f64 v[46:47], v[9:10], v[1:2], 1.0
	buffer_load_dword v9, off, s[44:47], 0 offset:352 ; 4-byte Folded Reload
	buffer_load_dword v10, off, s[44:47], 0 offset:356 ; 4-byte Folded Reload
	;; [unrolled: 1-line block ×4, first 2 shown]
	s_waitcnt vmcnt(2)
	v_mul_f64 v[9:10], v[9:10], s[0:1]
	s_waitcnt vmcnt(0)
	v_div_fixup_f64 v[50:51], v[11:12], v[5:6], 1.0
	v_mul_f64 v[11:12], v[21:22], s[0:1]
	v_fma_f64 v[9:10], v[46:47], v[9:10], 0
	v_fma_f64 v[56:57], v[50:51], v[11:12], v[9:10]
	buffer_load_dword v11, off, s[44:47], 0 offset:392 ; 4-byte Folded Reload
	buffer_load_dword v12, off, s[44:47], 0 offset:396 ; 4-byte Folded Reload
	v_mul_f64 v[9:10], v[40:41], s[0:1]
	v_fma_f64 v[9:10], v[46:47], v[9:10], 0
	s_waitcnt vmcnt(0)
	v_mul_f64 v[11:12], v[11:12], s[0:1]
	v_fma_f64 v[58:59], v[50:51], v[11:12], v[9:10]
	v_mul_f64 v[9:10], v[36:37], s[0:1]
	v_mul_f64 v[11:12], v[19:20], s[0:1]
	v_fma_f64 v[9:10], v[46:47], v[9:10], 0
	v_fma_f64 v[54:55], v[50:51], v[11:12], v[9:10]
	global_load_dwordx2 v[9:10], v[13:14], off
	s_waitcnt vmcnt(0)
	buffer_store_dword v9, off, s[44:47], 0 offset:584 ; 4-byte Folded Spill
	s_nop 0
	buffer_store_dword v10, off, s[44:47], 0 offset:588 ; 4-byte Folded Spill
	s_load_dword s20, s[4:5], 0x30
	s_load_dwordx2 s[0:1], s[4:5], 0x80
	buffer_load_dword v9, off, s[44:47], 0 offset:24 ; 4-byte Folded Reload
	s_waitcnt lgkmcnt(0)
	s_add_i32 s41, s20, s39
	s_sub_i32 s41, s41, s42
	s_lshl_b32 s42, s39, 1
	s_add_i32 s42, s20, s42
	s_mul_i32 s39, s39, 3
	s_sub_i32 s42, s42, s43
	s_add_i32 s39, s20, s39
	s_lshl_b32 s43, s38, 2
	s_add_i32 s37, s20, -7
	s_sub_i32 s39, s39, s43
	s_add_i32 s41, s41, -6
	s_add_i32 s42, s42, -5
	;; [unrolled: 1-line block ×3, first 2 shown]
	s_sub_i32 s38, s37, s38
	s_mul_i32 s41, s41, s36
	s_mul_i32 s42, s42, s36
	;; [unrolled: 1-line block ×4, first 2 shown]
	s_add_i32 s41, s35, s41
	s_add_i32 s42, s35, s42
	;; [unrolled: 1-line block ×4, first 2 shown]
	s_add_i32 s34, s20, -8
	s_waitcnt vmcnt(0)
	v_add_u32_e32 v11, s41, v9
	v_add_u32_e32 v10, s42, v9
	;; [unrolled: 1-line block ×4, first 2 shown]
	buffer_load_dword v9, off, s[44:47], 0 offset:8 ; 4-byte Folded Reload
	s_mov_b32 s35, s37
	buffer_store_dword v10, off, s[44:47], 0 offset:892 ; 4-byte Folded Spill
	buffer_store_dword v11, off, s[44:47], 0 offset:896 ; 4-byte Folded Spill
	s_waitcnt vmcnt(2)
	v_add_u32_e32 v12, s6, v9
	v_mad_u64_u32 v[9:10], s[38:39], v10, s7, v[12:13]
	v_mad_u64_u32 v[60:61], s[38:39], v11, s7, v[12:13]
	;; [unrolled: 1-line block ×3, first 2 shown]
	v_mov_b32_e32 v0, v12
	buffer_store_dword v9, off, s[44:47], 0 offset:24 ; 4-byte Folded Spill
	s_nop 0
	buffer_store_dword v10, off, s[44:47], 0 offset:28 ; 4-byte Folded Spill
	buffer_store_dword v0, off, s[44:47], 0 offset:900 ; 4-byte Folded Spill
	s_nop 0
	buffer_store_dword v1, off, s[44:47], 0 offset:904 ; 4-byte Folded Spill
	buffer_store_dword v13, off, s[44:47], 0 offset:908 ; 4-byte Folded Spill
	buffer_load_dword v0, off, s[44:47], 0 offset:336 ; 4-byte Folded Reload
	v_mul_f64 v[10:11], v[50:51], v[46:47]
	v_mad_u64_u32 v[62:63], s[38:39], v13, s7, v[12:13]
	s_waitcnt vmcnt(0)
	v_sub_u32_e32 v9, s20, v0
	v_mov_b32_e32 v0, v9
	v_add_u32_e32 v9, 0x17a, v9
	buffer_store_dword v0, off, s[44:47], 0 offset:8 ; 4-byte Folded Spill
	s_nop 0
	buffer_store_dword v1, off, s[44:47], 0 offset:12 ; 4-byte Folded Spill
	buffer_store_dword v10, off, s[44:47], 0 offset:948 ; 4-byte Folded Spill
	s_nop 0
	buffer_store_dword v11, off, s[44:47], 0 offset:952 ; 4-byte Folded Spill
.LBB4_2:                                ; =>This Loop Header: Depth=1
                                        ;     Child Loop BB4_3 Depth 2
	buffer_load_dword v12, off, s[44:47], 0 offset:24 ; 4-byte Folded Reload
	buffer_load_dword v13, off, s[44:47], 0 offset:28 ; 4-byte Folded Reload
	v_mov_b32_e32 v10, 0
	v_mov_b32_e32 v18, 0
	;; [unrolled: 1-line block ×7, first 2 shown]
	v_add_u32_e32 v48, s33, v62
	v_add_u32_e32 v49, s33, v61
	;; [unrolled: 1-line block ×3, first 2 shown]
	v_mov_b32_e32 v19, 0
	v_mov_b32_e32 v17, 0
	;; [unrolled: 1-line block ×4, first 2 shown]
	s_mov_b32 s36, s34
	s_waitcnt vmcnt(1)
	v_add_u32_e32 v52, s33, v12
	s_waitcnt vmcnt(0)
	v_mov_b32_e32 v12, 0
	v_mov_b32_e32 v13, 0
.LBB4_3:                                ;   Parent Loop BB4_2 Depth=1
                                        ; =>  This Inner Loop Header: Depth=2
	v_ashrrev_i32_e32 v25, 31, v24
	v_lshlrev_b64 v[22:23], 3, v[24:25]
	v_mov_b32_e32 v0, s25
	v_add_co_u32_e32 v22, vcc, s24, v22
	v_addc_co_u32_e32 v23, vcc, v0, v23, vcc
	global_load_dwordx2 v[25:26], v[22:23], off
	v_add_u32_e32 v22, s40, v48
	v_ashrrev_i32_e32 v23, 31, v22
	v_lshlrev_b64 v[22:23], 3, v[22:23]
	v_mov_b32_e32 v0, s11
	v_add_co_u32_e32 v27, vcc, s10, v22
	v_addc_co_u32_e32 v28, vcc, v0, v23, vcc
	v_add_co_u32_e32 v22, vcc, s12, v22
	v_mov_b32_e32 v0, s13
	v_addc_co_u32_e32 v23, vcc, v0, v23, vcc
	global_load_dwordx2 v[31:32], v[22:23], off
	v_add_u32_e32 v22, s40, v53
	v_ashrrev_i32_e32 v23, 31, v22
	v_lshlrev_b64 v[22:23], 3, v[22:23]
	v_add_u32_e32 v33, s40, v52
	v_ashrrev_i32_e32 v34, 31, v33
	v_add_co_u32_e32 v22, vcc, s14, v22
	v_mov_b32_e32 v0, s15
	v_lshlrev_b64 v[33:34], 3, v[33:34]
	v_addc_co_u32_e32 v23, vcc, v0, v23, vcc
	v_add_co_u32_e32 v33, vcc, s14, v33
	v_addc_co_u32_e32 v34, vcc, v0, v34, vcc
	global_load_dwordx2 v[33:34], v[33:34], off
	s_add_i32 s36, s36, 1
	global_load_dwordx2 v[27:28], v[27:28], off
	v_add_u32_e32 v53, s18, v53
	global_load_dwordx2 v[29:30], v[22:23], off
	v_add_u32_e32 v52, s18, v52
	v_add_u32_e32 v48, s18, v48
	v_subrev_u32_e32 v24, 48, v24
	s_cmp_ge_i32 s36, s20
	s_waitcnt vmcnt(2)
	v_mul_f64 v[37:38], v[1:2], v[33:34]
	s_waitcnt vmcnt(1)
	v_fma_f64 v[35:36], v[27:28], 2.0, v[31:32]
	v_mul_f64 v[37:38], v[33:34], v[37:38]
	s_waitcnt vmcnt(0)
	v_mul_f64 v[22:23], v[35:36], v[29:30]
	v_mul_f64 v[39:40], v[1:2], v[37:38]
	v_add_u32_e32 v37, s40, v49
	v_ashrrev_i32_e32 v38, 31, v37
	v_lshlrev_b64 v[37:38], 3, v[37:38]
	v_mul_f64 v[22:23], v[5:6], v[22:23]
	v_add_co_u32_e32 v37, vcc, s14, v37
	v_addc_co_u32_e32 v38, vcc, v0, v38, vcc
	global_load_dwordx2 v[37:38], v[37:38], off
	v_add_u32_e32 v49, s18, v49
	v_mul_f64 v[22:23], v[29:30], v[22:23]
	s_waitcnt vmcnt(0)
	v_fma_f64 v[43:44], v[37:38], v[37:38], v[39:40]
	v_mul_f64 v[41:42], v[37:38], v[37:38]
	v_mul_f64 v[43:44], v[27:28], v[43:44]
	v_fma_f64 v[22:23], v[5:6], v[22:23], v[43:44]
	v_mul_f64 v[43:44], v[5:6], v[29:30]
	v_fma_f64 v[20:21], v[25:26], v[22:23], v[20:21]
	v_mul_f64 v[22:23], v[35:36], v[33:34]
	v_mul_f64 v[43:44], v[29:30], v[43:44]
	;; [unrolled: 1-line block ×3, first 2 shown]
	v_fma_f64 v[41:42], v[5:6], v[43:44], v[41:42]
	v_mul_f64 v[22:23], v[33:34], v[22:23]
	v_mul_f64 v[41:42], v[27:28], v[41:42]
	v_fma_f64 v[22:23], v[1:2], v[22:23], v[41:42]
	v_fma_f64 v[18:19], v[25:26], v[22:23], v[18:19]
	v_mul_f64 v[22:23], v[35:36], v[37:38]
	v_fma_f64 v[35:36], v[5:6], v[43:44], v[39:40]
	v_mul_f64 v[35:36], v[27:28], v[35:36]
	v_fma_f64 v[22:23], v[37:38], v[22:23], v[35:36]
	v_fma_f64 v[10:11], v[25:26], v[22:23], v[10:11]
	v_add_f64 v[22:23], v[27:28], v[31:32]
	v_mul_f64 v[22:23], v[25:26], v[22:23]
	v_mul_f64 v[25:26], v[29:30], v[22:23]
	;; [unrolled: 1-line block ×3, first 2 shown]
	v_fma_f64 v[12:13], v[33:34], v[25:26], v[12:13]
	v_fma_f64 v[14:15], v[25:26], v[37:38], v[14:15]
	v_fma_f64 v[16:17], v[22:23], v[37:38], v[16:17]
	s_cbranch_scc0 .LBB4_3
; %bb.4:                                ;   in Loop: Header=BB4_2 Depth=1
	buffer_load_dword v0, off, s[44:47], 0  ; 4-byte Folded Reload
	s_mul_i32 s36, s35, s18
	v_mul_f64 v[31:32], v[50:51], v[46:47]
	v_mul_f64 v[16:17], v[50:51], v[16:17]
	;; [unrolled: 1-line block ×3, first 2 shown]
	v_add_u32_e32 v9, -6, v9
	v_mul_f64 v[18:19], v[31:32], v[18:19]
	v_mul_f64 v[20:21], v[31:32], v[20:21]
	;; [unrolled: 1-line block ×3, first 2 shown]
	s_waitcnt vmcnt(0)
	v_add_u32_e32 v22, s36, v0
	v_add_u32_e32 v24, s17, v22
	v_ashrrev_i32_e32 v25, 31, v24
	v_lshlrev_b64 v[25:26], 3, v[24:25]
	v_mov_b32_e32 v0, s9
	v_add_co_u32_e32 v25, vcc, s8, v25
	v_addc_co_u32_e32 v26, vcc, v0, v26, vcc
	global_load_dwordx2 v[25:26], v[25:26], off
	v_ashrrev_i32_e32 v23, 31, v22
	v_lshlrev_b64 v[22:23], 3, v[22:23]
	v_add_u32_e32 v27, s17, v24
	v_ashrrev_i32_e32 v28, 31, v27
	v_add_co_u32_e32 v22, vcc, s8, v22
	v_lshlrev_b64 v[27:28], 3, v[27:28]
	v_addc_co_u32_e32 v23, vcc, v0, v23, vcc
	v_add_co_u32_e32 v27, vcc, s8, v27
	v_addc_co_u32_e32 v28, vcc, v0, v28, vcc
	global_load_dwordx2 v[27:28], v[27:28], off
	s_nop 0
	global_load_dwordx2 v[22:23], v[22:23], off
	s_add_i32 s36, s35, 1
	s_cmp_ge_i32 s35, s20
	s_waitcnt vmcnt(2)
	v_mul_f64 v[29:30], v[12:13], v[25:26]
	v_mul_f64 v[18:19], v[18:19], v[25:26]
	;; [unrolled: 1-line block ×3, first 2 shown]
	s_waitcnt vmcnt(0)
	v_fma_f64 v[20:21], v[20:21], v[22:23], v[29:30]
	v_fma_f64 v[12:13], v[12:13], v[22:23], v[18:19]
	;; [unrolled: 1-line block ×6, first 2 shown]
	v_add_f64 v[56:57], v[56:57], v[14:15]
	v_add_f64 v[58:59], v[58:59], v[12:13]
	v_add_f64 v[54:55], v[54:55], v[10:11]
	s_cbranch_scc1 .LBB4_6
; %bb.5:                                ;   in Loop: Header=BB4_2 Depth=1
	s_mov_b32 s35, s36
	s_branch .LBB4_2
.LBB4_6:
	buffer_store_dword v62, off, s[44:47], 0 offset:884 ; 4-byte Folded Spill
	s_nop 0
	buffer_store_dword v63, off, s[44:47], 0 offset:888 ; 4-byte Folded Spill
	buffer_store_dword v61, off, s[44:47], 0 offset:876 ; 4-byte Folded Spill
	s_nop 0
	buffer_store_dword v62, off, s[44:47], 0 offset:880 ; 4-byte Folded Spill
	buffer_store_dword v60, off, s[44:47], 0 offset:868 ; 4-byte Folded Spill
	s_nop 0
	buffer_store_dword v61, off, s[44:47], 0 offset:872 ; 4-byte Folded Spill
	buffer_store_dword v58, off, s[44:47], 0 offset:720 ; 4-byte Folded Spill
	s_nop 0
	buffer_store_dword v59, off, s[44:47], 0 offset:724 ; 4-byte Folded Spill
	buffer_store_dword v56, off, s[44:47], 0 offset:712 ; 4-byte Folded Spill
	s_nop 0
	buffer_store_dword v57, off, s[44:47], 0 offset:716 ; 4-byte Folded Spill
	buffer_store_dword v54, off, s[44:47], 0 offset:632 ; 4-byte Folded Spill
	s_nop 0
	buffer_store_dword v55, off, s[44:47], 0 offset:636 ; 4-byte Folded Spill
	buffer_store_dword v50, off, s[44:47], 0 offset:40 ; 4-byte Folded Spill
	s_nop 0
	buffer_store_dword v51, off, s[44:47], 0 offset:44 ; 4-byte Folded Spill
	buffer_store_dword v46, off, s[44:47], 0 offset:32 ; 4-byte Folded Spill
	s_nop 0
	buffer_store_dword v47, off, s[44:47], 0 offset:36 ; 4-byte Folded Spill
	buffer_load_dword v0, off, s[44:47], 0 offset:288 ; 4-byte Folded Reload
	s_mul_i32 s24, s20, s18
	s_mov_b32 s25, s34
	s_waitcnt vmcnt(0)
	v_add_u32_e32 v11, s31, v0
	buffer_load_dword v0, off, s[44:47], 0 offset:296 ; 4-byte Folded Reload
	s_waitcnt vmcnt(0)
	v_add_u32_e32 v9, s31, v0
	buffer_load_dword v0, off, s[44:47], 0 offset:304 ; 4-byte Folded Reload
	;; [unrolled: 3-line block ×3, first 2 shown]
	buffer_load_dword v13, off, s[44:47], 0 offset:8 ; 4-byte Folded Reload
	buffer_load_dword v14, off, s[44:47], 0 offset:12 ; 4-byte Folded Reload
	s_waitcnt vmcnt(0)
	v_ashrrev_i32_e32 v14, 31, v13
	buffer_store_dword v13, off, s[44:47], 0 offset:8 ; 4-byte Folded Spill
	s_nop 0
	buffer_store_dword v14, off, s[44:47], 0 offset:12 ; 4-byte Folded Spill
	v_add_u32_e32 v12, s31, v0
	v_mov_b32_e32 v0, s27
	v_lshlrev_b64 v[13:14], 3, v[13:14]
	v_add_co_u32_e32 v42, vcc, s26, v13
	v_addc_co_u32_e32 v43, vcc, v0, v14, vcc
	buffer_load_dword v0, off, s[44:47], 0  ; 4-byte Folded Reload
	s_waitcnt vmcnt(0)
	v_add_u32_e32 v13, s24, v0
	v_ashrrev_i32_e32 v14, 31, v13
	v_lshlrev_b64 v[14:15], 3, v[13:14]
	v_mov_b32_e32 v0, s11
	v_add_co_u32_e32 v16, vcc, s10, v14
	v_addc_co_u32_e32 v17, vcc, v0, v15, vcc
	v_mov_b32_e32 v0, s13
	v_add_co_u32_e32 v14, vcc, s12, v14
	v_addc_co_u32_e32 v15, vcc, v0, v15, vcc
	buffer_store_dword v16, off, s[44:47], 0 ; 4-byte Folded Spill
	s_nop 0
	buffer_store_dword v17, off, s[44:47], 0 offset:4 ; 4-byte Folded Spill
	buffer_store_dword v14, off, s[44:47], 0 offset:288 ; 4-byte Folded Spill
	s_nop 0
	buffer_store_dword v15, off, s[44:47], 0 offset:292 ; 4-byte Folded Spill
	buffer_load_dword v0, off, s[44:47], 0 offset:16 ; 4-byte Folded Reload
	s_add_i32 s24, s21, s24
	v_add_u32_e32 v13, s18, v13
	s_waitcnt vmcnt(0)
	v_add_u32_e32 v14, s24, v0
	v_ashrrev_i32_e32 v15, 31, v14
	v_lshlrev_b64 v[15:16], 3, v[14:15]
	v_mov_b32_e32 v0, s15
	v_add_co_u32_e32 v15, vcc, s14, v15
	v_addc_co_u32_e32 v16, vcc, v0, v16, vcc
	buffer_store_dword v15, off, s[44:47], 0 offset:296 ; 4-byte Folded Spill
	s_nop 0
	buffer_store_dword v16, off, s[44:47], 0 offset:300 ; 4-byte Folded Spill
	v_add_u32_e32 v14, s17, v14
	v_ashrrev_i32_e32 v15, 31, v14
	v_lshlrev_b64 v[15:16], 3, v[14:15]
	v_add_u32_e32 v14, s17, v14
	v_add_co_u32_e32 v15, vcc, s14, v15
	v_addc_co_u32_e32 v16, vcc, v0, v16, vcc
	buffer_store_dword v15, off, s[44:47], 0 offset:304 ; 4-byte Folded Spill
	s_nop 0
	buffer_store_dword v16, off, s[44:47], 0 offset:308 ; 4-byte Folded Spill
	v_ashrrev_i32_e32 v15, 31, v14
	v_lshlrev_b64 v[14:15], 3, v[14:15]
	s_mul_i32 s24, s18, s37
	v_add_co_u32_e32 v14, vcc, s14, v14
	v_addc_co_u32_e32 v15, vcc, v0, v15, vcc
	buffer_store_dword v14, off, s[44:47], 0 offset:320 ; 4-byte Folded Spill
	s_nop 0
	buffer_store_dword v15, off, s[44:47], 0 offset:324 ; 4-byte Folded Spill
	v_ashrrev_i32_e32 v14, 31, v13
	v_lshlrev_b64 v[14:15], 3, v[13:14]
	v_mov_b32_e32 v0, s9
	v_add_co_u32_e32 v14, vcc, s8, v14
	v_addc_co_u32_e32 v15, vcc, v0, v15, vcc
	buffer_store_dword v14, off, s[44:47], 0 offset:336 ; 4-byte Folded Spill
	s_nop 0
	buffer_store_dword v15, off, s[44:47], 0 offset:340 ; 4-byte Folded Spill
	v_add_u32_e32 v13, s17, v13
	v_ashrrev_i32_e32 v14, 31, v13
	v_lshlrev_b64 v[14:15], 3, v[13:14]
	v_add_u32_e32 v13, s17, v13
	v_add_co_u32_e32 v14, vcc, s8, v14
	v_addc_co_u32_e32 v15, vcc, v0, v15, vcc
	buffer_store_dword v14, off, s[44:47], 0 offset:344 ; 4-byte Folded Spill
	s_nop 0
	buffer_store_dword v15, off, s[44:47], 0 offset:348 ; 4-byte Folded Spill
	v_ashrrev_i32_e32 v14, 31, v13
	v_lshlrev_b64 v[13:14], 3, v[13:14]
	v_add_co_u32_e32 v13, vcc, s8, v13
	v_addc_co_u32_e32 v14, vcc, v0, v14, vcc
	buffer_store_dword v13, off, s[44:47], 0 offset:352 ; 4-byte Folded Spill
	s_nop 0
	buffer_store_dword v14, off, s[44:47], 0 offset:356 ; 4-byte Folded Spill
	buffer_load_dword v16, off, s[44:47], 0 offset:328 ; 4-byte Folded Reload
	s_waitcnt vmcnt(0)
	v_add_u32_e32 v17, v16, v12
	v_add_u32_e32 v13, s21, v17
	v_ashrrev_i32_e32 v14, 31, v13
	v_lshlrev_b64 v[13:14], 3, v[13:14]
	v_add_u32_e32 v18, v16, v11
	v_add_co_u32_e32 v13, vcc, s8, v13
	v_addc_co_u32_e32 v14, vcc, v0, v14, vcc
	buffer_store_dword v13, off, s[44:47], 0 offset:360 ; 4-byte Folded Spill
	s_nop 0
	buffer_store_dword v14, off, s[44:47], 0 offset:364 ; 4-byte Folded Spill
	v_add_u32_e32 v13, s21, v18
	v_ashrrev_i32_e32 v14, 31, v13
	v_lshlrev_b64 v[13:14], 3, v[13:14]
	v_add_u32_e32 v15, v16, v10
	v_add_co_u32_e32 v13, vcc, s8, v13
	v_addc_co_u32_e32 v14, vcc, v0, v14, vcc
	buffer_store_dword v13, off, s[44:47], 0 offset:368 ; 4-byte Folded Spill
	s_nop 0
	buffer_store_dword v14, off, s[44:47], 0 offset:372 ; 4-byte Folded Spill
	;; [unrolled: 9-line block ×3, first 2 shown]
	v_add_u32_e32 v13, s21, v16
	v_ashrrev_i32_e32 v14, 31, v13
	v_lshlrev_b64 v[13:14], 3, v[13:14]
	v_add_co_u32_e32 v13, vcc, s8, v13
	v_addc_co_u32_e32 v14, vcc, v0, v14, vcc
	buffer_store_dword v13, off, s[44:47], 0 offset:328 ; 4-byte Folded Spill
	s_nop 0
	buffer_store_dword v14, off, s[44:47], 0 offset:332 ; 4-byte Folded Spill
	buffer_load_dword v21, off, s[44:47], 0 offset:312 ; 4-byte Folded Reload
	s_waitcnt vmcnt(0)
	v_add_u32_e32 v14, v21, v12
	v_add_u32_e32 v19, s21, v14
	v_ashrrev_i32_e32 v20, 31, v19
	v_lshlrev_b64 v[19:20], 3, v[19:20]
	v_add_u32_e32 v13, v21, v11
	v_add_co_u32_e32 v19, vcc, s8, v19
	v_addc_co_u32_e32 v20, vcc, v0, v20, vcc
	buffer_store_dword v19, off, s[44:47], 0 offset:384 ; 4-byte Folded Spill
	s_nop 0
	buffer_store_dword v20, off, s[44:47], 0 offset:388 ; 4-byte Folded Spill
	v_add_u32_e32 v19, s21, v13
	v_ashrrev_i32_e32 v20, 31, v19
	v_lshlrev_b64 v[19:20], 3, v[19:20]
	v_add_u32_e32 v30, v21, v10
	v_add_co_u32_e32 v19, vcc, s8, v19
	v_addc_co_u32_e32 v20, vcc, v0, v20, vcc
	buffer_store_dword v19, off, s[44:47], 0 offset:392 ; 4-byte Folded Spill
	s_nop 0
	buffer_store_dword v20, off, s[44:47], 0 offset:396 ; 4-byte Folded Spill
	;; [unrolled: 9-line block ×3, first 2 shown]
	global_load_dwordx2 v[42:43], v[42:43], off
	v_add_u32_e32 v19, s21, v28
	buffer_load_dword v21, off, s[44:47], 0 offset:280 ; 4-byte Folded Reload
	buffer_load_dword v22, off, s[44:47], 0 offset:272 ; 4-byte Folded Reload
	v_ashrrev_i32_e32 v20, 31, v19
	v_lshlrev_b64 v[19:20], 3, v[19:20]
	s_waitcnt vmcnt(2)
	buffer_store_dword v42, off, s[44:47], 0 offset:980 ; 4-byte Folded Spill
	s_nop 0
	buffer_store_dword v43, off, s[44:47], 0 offset:984 ; 4-byte Folded Spill
	buffer_load_dword v42, off, s[44:47], 0 ; 4-byte Folded Reload
	s_nop 0
	buffer_load_dword v43, off, s[44:47], 0 offset:4 ; 4-byte Folded Reload
	v_add_co_u32_e32 v44, vcc, s8, v19
	v_addc_co_u32_e32 v45, vcc, v0, v20, vcc
	s_waitcnt vmcnt(5)
	v_add_u32_e32 v26, v21, v12
	v_add_u32_e32 v19, s21, v26
	v_ashrrev_i32_e32 v20, 31, v19
	v_lshlrev_b64 v[19:20], 3, v[19:20]
	v_add_u32_e32 v25, v21, v11
	v_add_co_u32_e32 v46, vcc, s8, v19
	v_addc_co_u32_e32 v47, vcc, v0, v20, vcc
	v_add_u32_e32 v19, s21, v25
	v_ashrrev_i32_e32 v20, 31, v19
	v_lshlrev_b64 v[19:20], 3, v[19:20]
	v_add_u32_e32 v24, v21, v10
	v_add_co_u32_e32 v48, vcc, s8, v19
	v_addc_co_u32_e32 v49, vcc, v0, v20, vcc
	;; [unrolled: 6-line block ×3, first 2 shown]
	v_add_u32_e32 v19, s21, v27
	v_ashrrev_i32_e32 v20, 31, v19
	v_lshlrev_b64 v[19:20], 3, v[19:20]
	s_waitcnt vmcnt(4)
	v_add_u32_e32 v21, v22, v12
	v_add_co_u32_e32 v54, vcc, s8, v19
	v_addc_co_u32_e32 v55, vcc, v0, v20, vcc
	v_add_u32_e32 v19, s21, v21
	v_ashrrev_i32_e32 v20, 31, v19
	v_lshlrev_b64 v[19:20], 3, v[19:20]
	v_add_u32_e32 v29, v22, v11
	v_add_co_u32_e32 v56, vcc, s8, v19
	v_addc_co_u32_e32 v57, vcc, v0, v20, vcc
	v_add_u32_e32 v11, s21, v29
	v_ashrrev_i32_e32 v12, 31, v11
	v_lshlrev_b64 v[11:12], 3, v[11:12]
	v_add_u32_e32 v31, v22, v9
	v_add_co_u32_e32 v58, vcc, s8, v11
	v_addc_co_u32_e32 v59, vcc, v0, v12, vcc
	v_add_u32_e32 v0, v22, v10
	v_add_u32_e32 v10, s21, v0
	v_ashrrev_i32_e32 v11, 31, v10
	v_lshlrev_b64 v[10:11], 3, v[10:11]
	v_mov_b32_e32 v12, s9
	v_add_co_u32_e32 v60, vcc, s8, v10
	v_addc_co_u32_e32 v61, vcc, v12, v11, vcc
	v_add_u32_e32 v9, s21, v31
	v_ashrrev_i32_e32 v10, 31, v9
	v_lshlrev_b64 v[9:10], 3, v[9:10]
	v_mov_b32_e32 v11, s9
	v_add_co_u32_e32 v62, vcc, s8, v9
	v_addc_co_u32_e32 v63, vcc, v11, v10, vcc
	v_add_u32_e32 v9, s17, v17
	v_ashrrev_i32_e32 v10, 31, v9
	v_lshlrev_b64 v[9:10], 3, v[9:10]
	v_add_u32_e32 v32, s17, v26
	v_add_co_u32_e32 v22, vcc, s8, v9
	v_add_u32_e32 v9, s17, v18
	v_addc_co_u32_e32 v23, vcc, v11, v10, vcc
	s_waitcnt vmcnt(0)
	global_load_dwordx2 v[42:43], v[42:43], off
	v_ashrrev_i32_e32 v10, 31, v9
	v_lshlrev_b64 v[9:10], 3, v[9:10]
	v_ashrrev_i32_e32 v33, 31, v32
	v_add_co_u32_e32 v19, vcc, s8, v9
	v_add_u32_e32 v9, s17, v15
	v_addc_co_u32_e32 v20, vcc, v11, v10, vcc
	v_ashrrev_i32_e32 v10, 31, v9
	v_lshlrev_b64 v[9:10], 3, v[9:10]
	v_lshlrev_b64 v[32:33], 3, v[32:33]
	v_add_co_u32_e32 v50, vcc, s8, v9
	v_add_u32_e32 v9, s17, v16
	v_addc_co_u32_e32 v51, vcc, v11, v10, vcc
	v_ashrrev_i32_e32 v10, 31, v9
	v_lshlrev_b64 v[9:10], 3, v[9:10]
	v_mov_b32_e32 v26, s9
	v_add_co_u32_e32 v17, vcc, s8, v9
	v_add_u32_e32 v9, s17, v14
	v_addc_co_u32_e32 v18, vcc, v11, v10, vcc
	v_ashrrev_i32_e32 v10, 31, v9
	v_lshlrev_b64 v[9:10], 3, v[9:10]
	v_add_u32_e32 v25, s17, v25
	v_add_co_u32_e32 v15, vcc, s8, v9
	v_add_u32_e32 v9, s17, v13
	v_addc_co_u32_e32 v16, vcc, v11, v10, vcc
	v_ashrrev_i32_e32 v10, 31, v9
	v_lshlrev_b64 v[9:10], 3, v[9:10]
	v_add_u32_e32 v34, s17, v24
	v_add_co_u32_e32 v13, vcc, s8, v9
	v_add_u32_e32 v9, s17, v30
	s_waitcnt vmcnt(0)
	buffer_store_dword v42, off, s[44:47], 0 offset:1036 ; 4-byte Folded Spill
	s_nop 0
	buffer_store_dword v43, off, s[44:47], 0 offset:1040 ; 4-byte Folded Spill
	buffer_load_dword v42, off, s[44:47], 0 offset:288 ; 4-byte Folded Reload
	s_nop 0
	buffer_load_dword v43, off, s[44:47], 0 offset:292 ; 4-byte Folded Reload
	v_addc_co_u32_e32 v14, vcc, v11, v10, vcc
	v_ashrrev_i32_e32 v10, 31, v9
	v_lshlrev_b64 v[9:10], 3, v[9:10]
	v_ashrrev_i32_e32 v35, 31, v34
	v_add_co_u32_e32 v11, vcc, s8, v9
	v_add_u32_e32 v9, s17, v28
	v_addc_co_u32_e32 v12, vcc, v12, v10, vcc
	v_ashrrev_i32_e32 v10, 31, v9
	v_lshlrev_b64 v[9:10], 3, v[9:10]
	v_mov_b32_e32 v28, s9
	v_add_co_u32_e32 v9, vcc, s8, v9
	v_addc_co_u32_e32 v10, vcc, v28, v10, vcc
	v_add_co_u32_e32 v32, vcc, s8, v32
	v_addc_co_u32_e32 v33, vcc, v26, v33, vcc
	v_ashrrev_i32_e32 v26, 31, v25
	v_lshlrev_b64 v[25:26], 3, v[25:26]
	v_lshlrev_b64 v[34:35], 3, v[34:35]
	v_add_co_u32_e32 v25, vcc, s8, v25
	v_add_u32_e32 v27, s17, v27
	v_addc_co_u32_e32 v26, vcc, v28, v26, vcc
	v_ashrrev_i32_e32 v28, 31, v27
	v_mov_b32_e32 v24, s9
	v_add_co_u32_e32 v34, vcc, s8, v34
	v_lshlrev_b64 v[27:28], 3, v[27:28]
	v_add_u32_e32 v36, s17, v21
	v_addc_co_u32_e32 v35, vcc, v24, v35, vcc
	v_ashrrev_i32_e32 v37, 31, v36
	v_add_co_u32_e32 v27, vcc, s8, v27
	v_lshlrev_b64 v[36:37], 3, v[36:37]
	v_add_u32_e32 v29, s17, v29
	v_addc_co_u32_e32 v28, vcc, v24, v28, vcc
	v_ashrrev_i32_e32 v30, 31, v29
	v_mov_b32_e32 v21, s9
	v_add_co_u32_e32 v36, vcc, s8, v36
	v_lshlrev_b64 v[29:30], 3, v[29:30]
	v_addc_co_u32_e32 v37, vcc, v21, v37, vcc
	v_add_co_u32_e32 v29, vcc, s8, v29
	v_addc_co_u32_e32 v30, vcc, v21, v30, vcc
	v_add_u32_e32 v38, s17, v0
	v_ashrrev_i32_e32 v39, 31, v38
	v_lshlrev_b64 v[38:39], 3, v[38:39]
	v_mov_b32_e32 v0, s9
	v_add_co_u32_e32 v38, vcc, s8, v38
	v_addc_co_u32_e32 v39, vcc, v0, v39, vcc
	v_add_u32_e32 v40, s17, v31
	v_ashrrev_i32_e32 v41, 31, v40
	v_lshlrev_b64 v[40:41], 3, v[40:41]
	v_add_co_u32_e32 v40, vcc, s8, v40
	v_addc_co_u32_e32 v41, vcc, v0, v41, vcc
	s_waitcnt vmcnt(0)
	global_load_dwordx2 v[42:43], v[42:43], off
	s_waitcnt vmcnt(0)
	buffer_store_dword v42, off, s[44:47], 0 offset:1044 ; 4-byte Folded Spill
	s_nop 0
	buffer_store_dword v43, off, s[44:47], 0 offset:1048 ; 4-byte Folded Spill
	buffer_load_dword v42, off, s[44:47], 0 offset:296 ; 4-byte Folded Reload
	s_nop 0
	buffer_load_dword v43, off, s[44:47], 0 offset:300 ; 4-byte Folded Reload
	s_waitcnt vmcnt(0)
	global_load_dwordx2 v[42:43], v[42:43], off
	s_waitcnt vmcnt(0)
	buffer_store_dword v42, off, s[44:47], 0 offset:1028 ; 4-byte Folded Spill
	s_nop 0
	buffer_store_dword v43, off, s[44:47], 0 offset:1032 ; 4-byte Folded Spill
	buffer_load_dword v42, off, s[44:47], 0 offset:304 ; 4-byte Folded Reload
	s_nop 0
	buffer_load_dword v43, off, s[44:47], 0 offset:308 ; 4-byte Folded Reload
	;; [unrolled: 9-line block ×13, first 2 shown]
	s_waitcnt vmcnt(0)
	global_load_dwordx2 v[42:43], v[42:43], off
	s_waitcnt vmcnt(0)
	buffer_store_dword v42, off, s[44:47], 0 offset:376 ; 4-byte Folded Spill
	s_nop 0
	buffer_store_dword v43, off, s[44:47], 0 offset:380 ; 4-byte Folded Spill
	global_load_dwordx2 v[42:43], v[44:45], off
	s_waitcnt vmcnt(0)
	buffer_store_dword v42, off, s[44:47], 0 offset:408 ; 4-byte Folded Spill
	s_nop 0
	buffer_store_dword v43, off, s[44:47], 0 offset:412 ; 4-byte Folded Spill
	global_load_dwordx2 v[42:43], v[46:47], off
	v_mov_b32_e32 v45, 0
	v_mov_b32_e32 v46, 0
	s_waitcnt vmcnt(0)
	buffer_store_dword v42, off, s[44:47], 0 offset:512 ; 4-byte Folded Spill
	s_nop 0
	buffer_store_dword v43, off, s[44:47], 0 offset:516 ; 4-byte Folded Spill
	global_load_dwordx2 v[42:43], v[48:49], off
	v_mov_b32_e32 v47, 0
	v_mov_b32_e32 v48, 0
	s_waitcnt vmcnt(0)
	buffer_store_dword v42, off, s[44:47], 0 offset:480 ; 4-byte Folded Spill
	s_nop 0
	buffer_store_dword v43, off, s[44:47], 0 offset:484 ; 4-byte Folded Spill
	global_load_dwordx2 v[42:43], v[52:53], off
	s_waitcnt vmcnt(0)
	buffer_store_dword v42, off, s[44:47], 0 offset:424 ; 4-byte Folded Spill
	s_nop 0
	buffer_store_dword v43, off, s[44:47], 0 offset:428 ; 4-byte Folded Spill
	global_load_dwordx2 v[42:43], v[54:55], off
	;; [unrolled: 5-line block ×3, first 2 shown]
	v_mov_b32_e32 v55, 0
	v_mov_b32_e32 v56, 0
	s_waitcnt vmcnt(0)
	buffer_store_dword v42, off, s[44:47], 0 offset:520 ; 4-byte Folded Spill
	s_nop 0
	buffer_store_dword v43, off, s[44:47], 0 offset:524 ; 4-byte Folded Spill
	global_load_dwordx2 v[42:43], v[58:59], off
	s_waitcnt vmcnt(0)
	buffer_store_dword v42, off, s[44:47], 0 offset:496 ; 4-byte Folded Spill
	s_nop 0
	buffer_store_dword v43, off, s[44:47], 0 offset:500 ; 4-byte Folded Spill
	global_load_dwordx2 v[42:43], v[60:61], off
	;; [unrolled: 5-line block ×3, first 2 shown]
	v_mov_b32_e32 v61, 0
	v_mov_b32_e32 v62, 0
	s_waitcnt vmcnt(0)
	buffer_store_dword v42, off, s[44:47], 0 offset:448 ; 4-byte Folded Spill
	s_nop 0
	buffer_store_dword v43, off, s[44:47], 0 offset:452 ; 4-byte Folded Spill
	global_load_dwordx2 v[21:22], v[22:23], off
	v_mov_b32_e32 v23, 0
	v_mov_b32_e32 v43, 0
	;; [unrolled: 1-line block ×4, first 2 shown]
	s_waitcnt vmcnt(0)
	buffer_store_dword v21, off, s[44:47], 0 offset:336 ; 4-byte Folded Spill
	s_nop 0
	buffer_store_dword v22, off, s[44:47], 0 offset:340 ; 4-byte Folded Spill
	global_load_dwordx2 v[19:20], v[19:20], off
	s_nop 0
	buffer_load_dword v22, off, s[44:47], 0 offset:16 ; 4-byte Folded Reload
	s_waitcnt vmcnt(1)
	buffer_store_dword v19, off, s[44:47], 0 offset:352 ; 4-byte Folded Spill
	s_nop 0
	buffer_store_dword v20, off, s[44:47], 0 offset:356 ; 4-byte Folded Spill
	global_load_dwordx2 v[19:20], v[50:51], off
	v_mov_b32_e32 v49, 0
	v_mov_b32_e32 v50, 0
	s_waitcnt vmcnt(0)
	buffer_store_dword v19, off, s[44:47], 0 offset:272 ; 4-byte Folded Spill
	s_nop 0
	buffer_store_dword v20, off, s[44:47], 0 offset:276 ; 4-byte Folded Spill
	global_load_dwordx2 v[17:18], v[17:18], off
	s_waitcnt vmcnt(0)
	buffer_store_dword v17, off, s[44:47], 0 offset:280 ; 4-byte Folded Spill
	s_nop 0
	buffer_store_dword v18, off, s[44:47], 0 offset:284 ; 4-byte Folded Spill
	global_load_dwordx2 v[15:16], v[15:16], off
	;; [unrolled: 5-line block ×8, first 2 shown]
	v_mov_b32_e32 v33, 0
	v_mov_b32_e32 v34, 0
	s_waitcnt vmcnt(0)
	buffer_store_dword v9, off, s[44:47], 0 offset:312 ; 4-byte Folded Spill
	s_nop 0
	buffer_store_dword v10, off, s[44:47], 0 offset:316 ; 4-byte Folded Spill
	global_load_dwordx2 v[9:10], v[27:28], off
	s_waitcnt vmcnt(0)
	buffer_store_dword v9, off, s[44:47], 0 offset:304 ; 4-byte Folded Spill
	s_nop 0
	buffer_store_dword v10, off, s[44:47], 0 offset:308 ; 4-byte Folded Spill
	global_load_dwordx2 v[9:10], v[36:37], off
	v_mov_b32_e32 v35, 0
	v_mov_b32_e32 v36, 0
	s_waitcnt vmcnt(0)
	buffer_store_dword v9, off, s[44:47], 0 offset:440 ; 4-byte Folded Spill
	s_nop 0
	buffer_store_dword v10, off, s[44:47], 0 offset:444 ; 4-byte Folded Spill
	global_load_dwordx2 v[9:10], v[29:30], off
	s_waitcnt vmcnt(0)
	buffer_store_dword v9, off, s[44:47], 0 offset:432 ; 4-byte Folded Spill
	s_nop 0
	buffer_store_dword v10, off, s[44:47], 0 offset:436 ; 4-byte Folded Spill
	global_load_dwordx2 v[9:10], v[38:39], off
	v_mov_b32_e32 v37, 0
	v_mov_b32_e32 v38, 0
	s_waitcnt vmcnt(0)
	buffer_store_dword v9, off, s[44:47], 0 offset:320 ; 4-byte Folded Spill
	s_nop 0
	buffer_store_dword v10, off, s[44:47], 0 offset:324 ; 4-byte Folded Spill
	global_load_dwordx2 v[9:10], v[40:41], off
	v_mov_b32_e32 v41, 0
	v_mov_b32_e32 v39, 0
	;; [unrolled: 1-line block ×4, first 2 shown]
	s_waitcnt vmcnt(0)
	buffer_store_dword v9, off, s[44:47], 0 offset:328 ; 4-byte Folded Spill
	s_nop 0
	buffer_store_dword v10, off, s[44:47], 0 offset:332 ; 4-byte Folded Spill
	buffer_load_dword v9, off, s[44:47], 0 offset:8 ; 4-byte Folded Reload
	s_nop 0
	buffer_load_dword v10, off, s[44:47], 0 offset:12 ; 4-byte Folded Reload
	s_waitcnt vmcnt(1)
	v_add_u32_e32 v52, 42, v9
	v_mov_b32_e32 v13, v52
.LBB4_7:                                ; =>This Inner Loop Header: Depth=1
	v_ashrrev_i32_e32 v14, 31, v13
	s_waitcnt vmcnt(0)
	v_lshlrev_b64 v[9:10], 3, v[13:14]
	v_mov_b32_e32 v0, s1
	v_add_co_u32_e32 v9, vcc, s0, v9
	v_addc_co_u32_e32 v10, vcc, v0, v10, vcc
	s_ashr_i32 s26, s24, 31
	global_load_dwordx2 v[14:15], v[9:10], off
	v_add_co_u32_e32 v12, vcc, s24, v22
	v_mov_b32_e32 v0, s26
	v_ashrrev_i32_e32 v9, 31, v22
	v_addc_co_u32_e32 v9, vcc, v0, v9, vcc
	v_add_co_u32_e32 v10, vcc, s17, v12
	v_mov_b32_e32 v0, s19
	v_addc_co_u32_e32 v11, vcc, v9, v0, vcc
	v_lshlrev_b64 v[10:11], 3, v[10:11]
	v_mov_b32_e32 v0, s9
	v_add_co_u32_e32 v16, vcc, s8, v10
	v_addc_co_u32_e32 v17, vcc, v0, v11, vcc
	v_add_co_u32_e32 v10, vcc, s21, v12
	v_mov_b32_e32 v11, s28
	v_addc_co_u32_e32 v11, vcc, v9, v11, vcc
	v_lshlrev_b64 v[10:11], 3, v[10:11]
	global_load_dwordx4 v[25:28], v[16:17], off offset:-16
	v_add_co_u32_e32 v18, vcc, s8, v10
	v_addc_co_u32_e32 v19, vcc, v0, v11, vcc
	v_add_co_u32_e32 v10, vcc, s29, v12
	v_mov_b32_e32 v11, s30
	v_addc_co_u32_e32 v11, vcc, v9, v11, vcc
	v_lshlrev_b64 v[9:10], 3, v[10:11]
	global_load_dwordx4 v[29:32], v[18:19], off offset:-16
	v_add_co_u32_e32 v20, vcc, s8, v9
	v_addc_co_u32_e32 v21, vcc, v0, v10, vcc
	global_load_dwordx4 v[9:12], v[20:21], off offset:-16
	s_add_i32 s25, s25, 1
	s_add_i32 s24, s24, s18
	v_add_u32_e32 v13, -6, v13
	s_cmp_ge_i32 s25, s20
	s_waitcnt vmcnt(1)
	v_fma_f64 v[55:56], -v[14:15], v[29:30], v[55:56]
	v_fma_f64 v[49:50], -v[14:15], v[31:32], v[49:50]
	s_waitcnt vmcnt(0)
	v_fma_f64 v[61:62], -v[14:15], v[9:10], v[61:62]
	v_fma_f64 v[45:46], -v[14:15], v[11:12], v[45:46]
	global_load_dwordx4 v[9:12], v[16:17], off offset:8
	v_fma_f64 v[47:48], -v[14:15], v[25:26], v[47:48]
	global_load_dwordx4 v[16:19], v[18:19], off offset:8
	v_fma_f64 v[43:44], -v[14:15], v[27:28], v[43:44]
	s_waitcnt vmcnt(1)
	v_fma_f64 v[39:40], -v[14:15], v[11:12], v[39:40]
	v_fma_f64 v[35:36], -v[14:15], v[9:10], v[35:36]
	s_waitcnt vmcnt(0)
	v_fma_f64 v[41:42], -v[14:15], v[18:19], v[41:42]
	global_load_dwordx4 v[18:21], v[20:21], off offset:8
	v_fma_f64 v[33:34], -v[14:15], v[16:17], v[33:34]
	s_waitcnt vmcnt(0)
	v_fma_f64 v[37:38], -v[14:15], v[20:21], v[37:38]
	v_fma_f64 v[23:24], -v[14:15], v[18:19], v[23:24]
	s_cbranch_scc0 .LBB4_7
; %bb.8:
	buffer_store_dword v35, off, s[44:47], 0 offset:972 ; 4-byte Folded Spill
	s_nop 0
	buffer_store_dword v36, off, s[44:47], 0 offset:976 ; 4-byte Folded Spill
	buffer_store_dword v33, off, s[44:47], 0 offset:964 ; 4-byte Folded Spill
	s_nop 0
	buffer_store_dword v34, off, s[44:47], 0 offset:968 ; 4-byte Folded Spill
	;; [unrolled: 3-line block ×3, first 2 shown]
	buffer_load_dword v9, off, s[44:47], 0 offset:104 ; 4-byte Folded Reload
	buffer_load_dword v10, off, s[44:47], 0 offset:108 ; 4-byte Folded Reload
	v_mov_b32_e32 v0, s15
	buffer_load_dword v11, off, s[44:47], 0 offset:112 ; 4-byte Folded Reload
	buffer_load_dword v12, off, s[44:47], 0 offset:116 ; 4-byte Folded Reload
	;; [unrolled: 1-line block ×4, first 2 shown]
	s_lshl_b32 s19, s17, 2
	s_ashr_i32 s17, s19, 31
	s_lshl_b32 s21, s22, 2
	s_add_i32 s6, s6, s16
	s_add_i32 s6, s6, s23
	v_mov_b32_e32 v29, 0
	v_mov_b32_e32 v57, 0
	;; [unrolled: 1-line block ×14, first 2 shown]
	s_waitcnt vmcnt(5)
	v_add_co_u32_e32 v9, vcc, s14, v9
	s_waitcnt vmcnt(4)
	v_addc_co_u32_e32 v10, vcc, v0, v10, vcc
	global_load_dwordx4 v[15:18], v[9:10], off offset:8
	s_waitcnt vmcnt(4)
	v_add_co_u32_e32 v11, vcc, s14, v11
	s_waitcnt vmcnt(3)
	v_addc_co_u32_e32 v12, vcc, v0, v12, vcc
	v_mov_b32_e32 v0, s17
	s_waitcnt vmcnt(2)
	v_add_co_u32_e32 v13, vcc, s19, v13
	s_waitcnt vmcnt(1)
	v_addc_co_u32_e32 v14, vcc, v14, v0, vcc
	v_lshlrev_b64 v[13:14], 3, v[13:14]
	v_mov_b32_e32 v0, s15
	v_add_co_u32_e32 v13, vcc, s14, v13
	v_addc_co_u32_e32 v14, vcc, v0, v14, vcc
	s_mul_i32 s17, s23, 3
	s_waitcnt vmcnt(0)
	buffer_store_dword v15, off, s[44:47], 0 offset:1052 ; 4-byte Folded Spill
	s_nop 0
	buffer_store_dword v16, off, s[44:47], 0 offset:1056 ; 4-byte Folded Spill
	buffer_store_dword v17, off, s[44:47], 0 offset:1060 ; 4-byte Folded Spill
	;; [unrolled: 1-line block ×3, first 2 shown]
	global_load_dwordx4 v[15:18], v[9:10], off offset:-16
	s_waitcnt vmcnt(0)
	buffer_store_dword v15, off, s[44:47], 0 offset:544 ; 4-byte Folded Spill
	s_nop 0
	buffer_store_dword v16, off, s[44:47], 0 offset:548 ; 4-byte Folded Spill
	buffer_store_dword v17, off, s[44:47], 0 offset:552 ; 4-byte Folded Spill
	;; [unrolled: 1-line block ×3, first 2 shown]
	global_load_dwordx4 v[15:18], v[11:12], off offset:8
	s_waitcnt vmcnt(0)
	buffer_store_dword v15, off, s[44:47], 0 offset:1084 ; 4-byte Folded Spill
	s_nop 0
	buffer_store_dword v16, off, s[44:47], 0 offset:1088 ; 4-byte Folded Spill
	buffer_store_dword v17, off, s[44:47], 0 offset:1092 ; 4-byte Folded Spill
	buffer_store_dword v18, off, s[44:47], 0 offset:1096 ; 4-byte Folded Spill
	global_load_dwordx4 v[9:12], v[11:12], off offset:-16
	v_mov_b32_e32 v17, 0
	v_mov_b32_e32 v18, 0
	s_waitcnt vmcnt(0)
	buffer_store_dword v9, off, s[44:47], 0 offset:560 ; 4-byte Folded Spill
	s_nop 0
	buffer_store_dword v10, off, s[44:47], 0 offset:564 ; 4-byte Folded Spill
	buffer_store_dword v11, off, s[44:47], 0 offset:568 ; 4-byte Folded Spill
	buffer_store_dword v12, off, s[44:47], 0 offset:572 ; 4-byte Folded Spill
	global_load_dwordx4 v[9:12], v[13:14], off offset:8
	s_waitcnt vmcnt(0)
	buffer_store_dword v9, off, s[44:47], 0 offset:1068 ; 4-byte Folded Spill
	s_nop 0
	buffer_store_dword v10, off, s[44:47], 0 offset:1072 ; 4-byte Folded Spill
	buffer_store_dword v11, off, s[44:47], 0 offset:1076 ; 4-byte Folded Spill
	;; [unrolled: 1-line block ×3, first 2 shown]
	global_load_dwordx4 v[9:12], v[13:14], off offset:-16
	s_waitcnt vmcnt(0)
	buffer_store_dword v9, off, s[44:47], 0 offset:528 ; 4-byte Folded Spill
	s_nop 0
	buffer_store_dword v10, off, s[44:47], 0 offset:532 ; 4-byte Folded Spill
	buffer_store_dword v11, off, s[44:47], 0 offset:536 ; 4-byte Folded Spill
	;; [unrolled: 1-line block ×3, first 2 shown]
	buffer_load_dword v0, off, s[44:47], 0 offset:908 ; 4-byte Folded Reload
	s_nop 0
	buffer_load_dword v9, off, s[44:47], 0 offset:900 ; 4-byte Folded Reload
	buffer_load_dword v10, off, s[44:47], 0 offset:904 ; 4-byte Folded Reload
	;; [unrolled: 1-line block ×4, first 2 shown]
	s_waitcnt vmcnt(3)
	v_mov_b32_e32 v14, v9
	v_add_u32_e32 v0, -2, v0
	v_mul_lo_u32 v0, v0, s7
	s_waitcnt vmcnt(1)
	v_add_u32_e32 v11, -2, v11
	v_mul_lo_u32 v11, v11, s7
	s_waitcnt vmcnt(0)
	v_add_u32_e32 v12, -2, v12
	v_add_u32_e32 v9, v14, v0
	v_add_u32_e32 v10, s17, v9
	v_subrev_u32_e32 v10, s21, v10
	v_mul_lo_u32 v12, v12, s7
	v_add_u32_e32 v19, 3, v10
	v_add_u32_e32 v10, v14, v11
	;; [unrolled: 1-line block ×3, first 2 shown]
	v_subrev_u32_e32 v13, s21, v13
	v_add_u32_e32 v24, 3, v13
	v_add_u32_e32 v13, v14, v12
	;; [unrolled: 1-line block ×3, first 2 shown]
	v_subrev_u32_e32 v14, s21, v14
	s_lshl_b32 s7, s23, 2
	v_add_u32_e32 v23, 3, v14
	v_add_u32_e32 v14, s7, v9
	s_mul_i32 s17, s22, 5
	v_subrev_u32_e32 v14, s17, v14
	v_add_u32_e32 v22, 4, v14
	v_add_u32_e32 v14, s7, v10
	v_subrev_u32_e32 v14, s17, v14
	v_add_u32_e32 v21, 4, v14
	v_add_u32_e32 v14, s7, v13
	v_subrev_u32_e32 v14, s17, v14
	v_add_u32_e32 v15, 4, v14
	buffer_load_dword v14, off, s[44:47], 0 offset:864 ; 4-byte Folded Reload
	v_subrev_u32_e32 v51, s22, v13
	v_subrev_u32_e32 v63, s22, v10
	s_waitcnt vmcnt(0)
	v_add_u32_e32 v14, s6, v14
	v_add_u32_e32 v0, v14, v0
	s_lshl_b32 s6, s22, 1
	v_subrev_u32_e32 v0, s6, v0
	v_add_u32_e32 v16, 1, v0
	v_add_u32_e32 v0, v14, v11
	v_subrev_u32_e32 v0, s6, v0
	v_add_u32_e32 v11, 1, v0
	v_add_u32_e32 v0, v14, v12
	v_mov_b32_e32 v13, 0
	v_subrev_u32_e32 v0, s6, v0
	v_mov_b32_e32 v14, 0
	v_add_u32_e32 v12, 1, v0
	v_subrev_u32_e32 v0, s22, v9
	buffer_store_dword v51, off, s[44:47], 0 offset:944 ; 4-byte Folded Spill
	buffer_store_dword v63, off, s[44:47], 0 offset:940 ; 4-byte Folded Spill
	;; [unrolled: 1-line block ×13, first 2 shown]
	s_nop 0
	buffer_store_dword v14, off, s[44:47], 0 offset:12 ; 4-byte Folded Spill
	v_mov_b32_e32 v13, 0
	v_mov_b32_e32 v14, 0
	buffer_store_dword v13, off, s[44:47], 0 ; 4-byte Folded Spill
	s_nop 0
	buffer_store_dword v14, off, s[44:47], 0 offset:4 ; 4-byte Folded Spill
	v_mov_b32_e32 v13, 0
	v_mov_b32_e32 v14, 0
	buffer_store_dword v13, off, s[44:47], 0 offset:16 ; 4-byte Folded Spill
	s_nop 0
	buffer_store_dword v14, off, s[44:47], 0 offset:20 ; 4-byte Folded Spill
	v_mov_b32_e32 v9, v12
	v_mov_b32_e32 v10, v11
	;; [unrolled: 1-line block ×5, first 2 shown]
	s_mov_b32 s6, s34
	v_mov_b32_e32 v16, 0
	v_mov_b32_e32 v13, v52
	buffer_store_dword v13, off, s[44:47], 0 offset:916 ; 4-byte Folded Spill
	s_nop 0
	buffer_store_dword v14, off, s[44:47], 0 offset:920 ; 4-byte Folded Spill
.LBB4_9:                                ; =>This Inner Loop Header: Depth=1
	v_ashrrev_i32_e32 v53, 31, v52
	v_lshlrev_b64 v[59:60], 3, v[52:53]
	v_mov_b32_e32 v13, s1
	v_add_co_u32_e32 v59, vcc, s0, v59
	v_addc_co_u32_e32 v60, vcc, v13, v60, vcc
	v_add_u32_e32 v13, s33, v0
	v_ashrrev_i32_e32 v14, 31, v13
	v_lshlrev_b64 v[13:14], 3, v[13:14]
	v_mov_b32_e32 v20, s9
	v_add_co_u32_e32 v13, vcc, s8, v13
	v_addc_co_u32_e32 v14, vcc, v20, v14, vcc
	global_load_dwordx2 v[59:60], v[59:60], off
	s_add_i32 s6, s6, 1
	global_load_dwordx2 v[13:14], v[13:14], off
	v_add_u32_e32 v0, s18, v0
	v_add_u32_e32 v52, -6, v52
	s_cmp_ge_i32 s6, s20
	s_waitcnt vmcnt(0)
	v_fma_f64 v[35:36], -v[59:60], v[13:14], v[35:36]
	v_add_u32_e32 v13, s33, v63
	v_ashrrev_i32_e32 v14, 31, v13
	v_lshlrev_b64 v[13:14], 3, v[13:14]
	v_add_u32_e32 v63, s18, v63
	v_add_co_u32_e32 v13, vcc, s8, v13
	v_addc_co_u32_e32 v14, vcc, v20, v14, vcc
	global_load_dwordx2 v[13:14], v[13:14], off
	s_waitcnt vmcnt(0)
	v_fma_f64 v[27:28], -v[59:60], v[13:14], v[27:28]
	v_add_u32_e32 v13, s33, v51
	v_ashrrev_i32_e32 v14, 31, v13
	v_lshlrev_b64 v[13:14], 3, v[13:14]
	v_add_u32_e32 v51, s18, v51
	v_add_co_u32_e32 v13, vcc, s8, v13
	v_addc_co_u32_e32 v14, vcc, v20, v14, vcc
	global_load_dwordx2 v[13:14], v[13:14], off
	s_nop 0
	buffer_load_dword v53, off, s[44:47], 0 offset:16 ; 4-byte Folded Reload
	buffer_load_dword v54, off, s[44:47], 0 offset:20 ; 4-byte Folded Reload
	s_waitcnt vmcnt(0)
	v_fma_f64 v[53:54], -v[59:60], v[13:14], v[53:54]
	v_add_u32_e32 v13, s33, v11
	v_ashrrev_i32_e32 v14, 31, v13
	v_lshlrev_b64 v[13:14], 3, v[13:14]
	buffer_store_dword v53, off, s[44:47], 0 offset:16 ; 4-byte Folded Spill
	s_nop 0
	buffer_store_dword v54, off, s[44:47], 0 offset:20 ; 4-byte Folded Spill
	v_add_co_u32_e32 v13, vcc, s8, v13
	v_addc_co_u32_e32 v14, vcc, v20, v14, vcc
	global_load_dwordx2 v[13:14], v[13:14], off
	v_add_u32_e32 v11, s18, v11
	s_waitcnt vmcnt(0)
	v_fma_f64 v[31:32], -v[59:60], v[13:14], v[31:32]
	v_add_u32_e32 v13, s33, v10
	v_ashrrev_i32_e32 v14, 31, v13
	v_lshlrev_b64 v[13:14], 3, v[13:14]
	v_add_u32_e32 v10, s18, v10
	v_add_co_u32_e32 v13, vcc, s8, v13
	v_addc_co_u32_e32 v14, vcc, v20, v14, vcc
	global_load_dwordx2 v[13:14], v[13:14], off
	s_waitcnt vmcnt(0)
	v_fma_f64 v[25:26], -v[59:60], v[13:14], v[25:26]
	v_add_u32_e32 v13, s33, v9
	v_ashrrev_i32_e32 v14, 31, v13
	v_lshlrev_b64 v[13:14], 3, v[13:14]
	v_add_u32_e32 v9, s18, v9
	v_add_co_u32_e32 v13, vcc, s8, v13
	v_addc_co_u32_e32 v14, vcc, v20, v14, vcc
	global_load_dwordx2 v[13:14], v[13:14], off
	s_nop 0
	buffer_load_dword v53, off, s[44:47], 0 ; 4-byte Folded Reload
	buffer_load_dword v54, off, s[44:47], 0 offset:4 ; 4-byte Folded Reload
	s_waitcnt vmcnt(0)
	v_fma_f64 v[53:54], -v[59:60], v[13:14], v[53:54]
	v_add_u32_e32 v13, s33, v22
	v_ashrrev_i32_e32 v14, 31, v13
	v_lshlrev_b64 v[13:14], 3, v[13:14]
	buffer_store_dword v53, off, s[44:47], 0 ; 4-byte Folded Spill
	s_nop 0
	buffer_store_dword v54, off, s[44:47], 0 offset:4 ; 4-byte Folded Spill
	v_add_co_u32_e32 v13, vcc, s8, v13
	v_addc_co_u32_e32 v14, vcc, v20, v14, vcc
	global_load_dwordx2 v[13:14], v[13:14], off
	v_add_u32_e32 v22, s18, v22
	s_waitcnt vmcnt(0)
	v_fma_f64 v[17:18], -v[59:60], v[13:14], v[17:18]
	v_add_u32_e32 v13, s33, v21
	v_ashrrev_i32_e32 v14, 31, v13
	v_lshlrev_b64 v[13:14], 3, v[13:14]
	v_add_u32_e32 v21, s18, v21
	v_add_co_u32_e32 v13, vcc, s8, v13
	v_addc_co_u32_e32 v14, vcc, v20, v14, vcc
	global_load_dwordx2 v[13:14], v[13:14], off
	s_waitcnt vmcnt(0)
	v_fma_f64 v[57:58], -v[59:60], v[13:14], v[57:58]
	v_add_u32_e32 v13, s33, v12
	v_ashrrev_i32_e32 v14, 31, v13
	v_lshlrev_b64 v[13:14], 3, v[13:14]
	v_add_u32_e32 v12, s18, v12
	v_add_co_u32_e32 v13, vcc, s8, v13
	v_addc_co_u32_e32 v14, vcc, v20, v14, vcc
	global_load_dwordx2 v[13:14], v[13:14], off
	;; [unrolled: 9-line block ×5, first 2 shown]
	s_nop 0
	buffer_load_dword v53, off, s[44:47], 0 offset:8 ; 4-byte Folded Reload
	buffer_load_dword v54, off, s[44:47], 0 offset:12 ; 4-byte Folded Reload
	s_waitcnt vmcnt(0)
	v_fma_f64 v[53:54], -v[59:60], v[13:14], v[53:54]
	buffer_store_dword v53, off, s[44:47], 0 offset:8 ; 4-byte Folded Spill
	s_nop 0
	buffer_store_dword v54, off, s[44:47], 0 offset:12 ; 4-byte Folded Spill
	s_cbranch_scc0 .LBB4_9
; %bb.10:
	buffer_load_dword v9, off, s[44:47], 0 offset:472 ; 4-byte Folded Reload
	buffer_load_dword v10, off, s[44:47], 0 offset:476 ; 4-byte Folded Reload
	;; [unrolled: 1-line block ×4, first 2 shown]
	s_mov_b32 s6, 0x55555555
	s_mov_b32 s7, 0x3fb55555
	;; [unrolled: 1-line block ×4, first 2 shown]
	v_mov_b32_e32 v0, s15
	s_waitcnt vmcnt(0)
	v_add_f64 v[9:10], v[11:12], -v[9:10]
	buffer_load_dword v11, off, s[44:47], 0 offset:376 ; 4-byte Folded Reload
	buffer_load_dword v12, off, s[44:47], 0 offset:380 ; 4-byte Folded Reload
	;; [unrolled: 1-line block ×4, first 2 shown]
	v_mul_f64 v[9:10], v[9:10], s[6:7]
	s_waitcnt vmcnt(0)
	v_add_f64 v[11:12], v[11:12], -v[13:14]
	v_fma_f64 v[9:10], v[11:12], s[16:17], -v[9:10]
	buffer_load_dword v11, off, s[44:47], 0 offset:464 ; 4-byte Folded Reload
	buffer_load_dword v12, off, s[44:47], 0 offset:468 ; 4-byte Folded Reload
	;; [unrolled: 1-line block ×4, first 2 shown]
	s_waitcnt vmcnt(0)
	v_add_f64 v[11:12], v[13:14], -v[11:12]
	buffer_load_dword v13, off, s[44:47], 0 offset:344 ; 4-byte Folded Reload
	buffer_load_dword v14, off, s[44:47], 0 offset:348 ; 4-byte Folded Reload
	;; [unrolled: 1-line block ×4, first 2 shown]
	v_mul_f64 v[11:12], v[11:12], s[6:7]
	s_waitcnt vmcnt(0)
	v_add_f64 v[19:20], v[13:14], -v[19:20]
	buffer_load_dword v13, off, s[44:47], 0 offset:848 ; 4-byte Folded Reload
	buffer_load_dword v14, off, s[44:47], 0 offset:852 ; 4-byte Folded Reload
	v_fma_f64 v[11:12], v[19:20], s[16:17], -v[11:12]
	s_waitcnt vmcnt(0)
	v_mul_f64 v[9:10], v[13:14], v[9:10]
	buffer_load_dword v13, off, s[44:47], 0 offset:856 ; 4-byte Folded Reload
	buffer_load_dword v14, off, s[44:47], 0 offset:860 ; 4-byte Folded Reload
	s_waitcnt vmcnt(0)
	v_fma_f64 v[9:10], v[13:14], v[11:12], -v[9:10]
	buffer_store_dword v9, off, s[44:47], 0 offset:848 ; 4-byte Folded Spill
	s_nop 0
	buffer_store_dword v10, off, s[44:47], 0 offset:852 ; 4-byte Folded Spill
	buffer_load_dword v9, off, s[44:47], 0 offset:496 ; 4-byte Folded Reload
	s_nop 0
	buffer_load_dword v10, off, s[44:47], 0 offset:500 ; 4-byte Folded Reload
	buffer_load_dword v11, off, s[44:47], 0 offset:520 ; 4-byte Folded Reload
	;; [unrolled: 1-line block ×3, first 2 shown]
	s_waitcnt vmcnt(0)
	v_add_f64 v[9:10], v[11:12], -v[9:10]
	buffer_load_dword v11, off, s[44:47], 0 offset:448 ; 4-byte Folded Reload
	buffer_load_dword v12, off, s[44:47], 0 offset:452 ; 4-byte Folded Reload
	;; [unrolled: 1-line block ×4, first 2 shown]
	v_mul_f64 v[9:10], v[9:10], s[6:7]
	s_waitcnt vmcnt(0)
	v_add_f64 v[11:12], v[13:14], -v[11:12]
	v_fma_f64 v[9:10], v[11:12], s[16:17], -v[9:10]
	buffer_load_dword v11, off, s[44:47], 0 offset:480 ; 4-byte Folded Reload
	buffer_load_dword v12, off, s[44:47], 0 offset:484 ; 4-byte Folded Reload
	;; [unrolled: 1-line block ×4, first 2 shown]
	s_waitcnt vmcnt(0)
	v_add_f64 v[11:12], v[13:14], -v[11:12]
	buffer_load_dword v13, off, s[44:47], 0 offset:416 ; 4-byte Folded Reload
	buffer_load_dword v14, off, s[44:47], 0 offset:420 ; 4-byte Folded Reload
	buffer_load_dword v19, off, s[44:47], 0 offset:424 ; 4-byte Folded Reload
	buffer_load_dword v20, off, s[44:47], 0 offset:428 ; 4-byte Folded Reload
	v_mul_f64 v[11:12], v[11:12], s[6:7]
	s_waitcnt vmcnt(0)
	v_add_f64 v[19:20], v[19:20], -v[13:14]
	buffer_load_dword v13, off, s[44:47], 0 offset:840 ; 4-byte Folded Reload
	buffer_load_dword v14, off, s[44:47], 0 offset:844 ; 4-byte Folded Reload
	v_fma_f64 v[11:12], v[19:20], s[16:17], -v[11:12]
	s_waitcnt vmcnt(0)
	v_mul_f64 v[9:10], v[13:14], v[9:10]
	buffer_load_dword v13, off, s[44:47], 0 offset:832 ; 4-byte Folded Reload
	buffer_load_dword v14, off, s[44:47], 0 offset:836 ; 4-byte Folded Reload
	s_waitcnt vmcnt(0)
	v_fma_f64 v[9:10], v[13:14], v[11:12], -v[9:10]
	buffer_store_dword v9, off, s[44:47], 0 offset:832 ; 4-byte Folded Spill
	s_nop 0
	buffer_store_dword v10, off, s[44:47], 0 offset:836 ; 4-byte Folded Spill
	buffer_load_dword v9, off, s[44:47], 0 offset:336 ; 4-byte Folded Reload
	s_nop 0
	buffer_load_dword v10, off, s[44:47], 0 offset:340 ; 4-byte Folded Reload
	buffer_load_dword v11, off, s[44:47], 0 offset:352 ; 4-byte Folded Reload
	;; [unrolled: 1-line block ×3, first 2 shown]
	s_waitcnt vmcnt(0)
	v_add_f64 v[9:10], v[9:10], -v[11:12]
	buffer_load_dword v11, off, s[44:47], 0 offset:272 ; 4-byte Folded Reload
	buffer_load_dword v12, off, s[44:47], 0 offset:276 ; 4-byte Folded Reload
	;; [unrolled: 1-line block ×4, first 2 shown]
	v_mul_f64 v[9:10], v[9:10], s[6:7]
	s_waitcnt vmcnt(0)
	v_add_f64 v[11:12], v[11:12], -v[13:14]
	v_fma_f64 v[9:10], v[11:12], s[16:17], -v[9:10]
	buffer_load_dword v11, off, s[44:47], 0 offset:368 ; 4-byte Folded Reload
	buffer_load_dword v12, off, s[44:47], 0 offset:372 ; 4-byte Folded Reload
	;; [unrolled: 1-line block ×4, first 2 shown]
	s_waitcnt vmcnt(0)
	v_add_f64 v[11:12], v[11:12], -v[13:14]
	buffer_load_dword v13, off, s[44:47], 0 offset:288 ; 4-byte Folded Reload
	buffer_load_dword v14, off, s[44:47], 0 offset:292 ; 4-byte Folded Reload
	;; [unrolled: 1-line block ×4, first 2 shown]
	v_mul_f64 v[11:12], v[11:12], s[6:7]
	s_waitcnt vmcnt(0)
	v_add_f64 v[19:20], v[13:14], -v[19:20]
	buffer_load_dword v21, off, s[44:47], 0 offset:72 ; 4-byte Folded Reload
	buffer_load_dword v22, off, s[44:47], 0 offset:76 ; 4-byte Folded Reload
	;; [unrolled: 1-line block ×4, first 2 shown]
	v_fma_f64 v[11:12], v[19:20], s[16:17], -v[11:12]
	s_waitcnt vmcnt(0)
	v_mul_f64 v[19:20], v[21:22], v[13:14]
	v_mul_f64 v[19:20], v[21:22], v[19:20]
	buffer_load_dword v21, off, s[44:47], 0 offset:176 ; 4-byte Folded Reload
	buffer_load_dword v22, off, s[44:47], 0 offset:180 ; 4-byte Folded Reload
	;; [unrolled: 1-line block ×4, first 2 shown]
	v_mul_f64 v[11:12], v[19:20], v[11:12]
	s_waitcnt vmcnt(0)
	v_mul_f64 v[19:20], v[21:22], v[13:14]
	v_mul_f64 v[19:20], v[21:22], v[19:20]
	v_fma_f64 v[9:10], v[19:20], v[9:10], -v[11:12]
	buffer_store_dword v9, off, s[44:47], 0 offset:840 ; 4-byte Folded Spill
	s_nop 0
	buffer_store_dword v10, off, s[44:47], 0 offset:844 ; 4-byte Folded Spill
	buffer_load_dword v9, off, s[44:47], 0 offset:392 ; 4-byte Folded Reload
	s_nop 0
	buffer_load_dword v10, off, s[44:47], 0 offset:396 ; 4-byte Folded Reload
	buffer_load_dword v11, off, s[44:47], 0 offset:400 ; 4-byte Folded Reload
	;; [unrolled: 1-line block ×3, first 2 shown]
	s_waitcnt vmcnt(0)
	v_add_f64 v[9:10], v[11:12], -v[9:10]
	buffer_load_dword v11, off, s[44:47], 0 offset:304 ; 4-byte Folded Reload
	buffer_load_dword v12, off, s[44:47], 0 offset:308 ; 4-byte Folded Reload
	;; [unrolled: 1-line block ×4, first 2 shown]
	v_mul_f64 v[9:10], v[9:10], s[6:7]
	s_waitcnt vmcnt(0)
	v_add_f64 v[11:12], v[13:14], -v[11:12]
	v_fma_f64 v[9:10], v[11:12], s[16:17], -v[9:10]
	buffer_load_dword v11, off, s[44:47], 0 offset:432 ; 4-byte Folded Reload
	buffer_load_dword v12, off, s[44:47], 0 offset:436 ; 4-byte Folded Reload
	;; [unrolled: 1-line block ×4, first 2 shown]
	s_waitcnt vmcnt(0)
	v_add_f64 v[11:12], v[13:14], -v[11:12]
	buffer_load_dword v13, off, s[44:47], 0 offset:328 ; 4-byte Folded Reload
	buffer_load_dword v14, off, s[44:47], 0 offset:332 ; 4-byte Folded Reload
	;; [unrolled: 1-line block ×4, first 2 shown]
	v_mul_f64 v[11:12], v[11:12], s[6:7]
	s_waitcnt vmcnt(0)
	v_add_f64 v[19:20], v[19:20], -v[13:14]
	buffer_load_dword v21, off, s[44:47], 0 offset:120 ; 4-byte Folded Reload
	buffer_load_dword v22, off, s[44:47], 0 offset:124 ; 4-byte Folded Reload
	;; [unrolled: 1-line block ×4, first 2 shown]
	v_fma_f64 v[11:12], v[19:20], s[16:17], -v[11:12]
	s_waitcnt vmcnt(0)
	v_mul_f64 v[19:20], v[21:22], v[13:14]
	v_mul_f64 v[19:20], v[21:22], v[19:20]
	buffer_load_dword v21, off, s[44:47], 0 offset:64 ; 4-byte Folded Reload
	buffer_load_dword v22, off, s[44:47], 0 offset:68 ; 4-byte Folded Reload
	;; [unrolled: 1-line block ×4, first 2 shown]
	v_mul_f64 v[11:12], v[19:20], v[11:12]
	s_waitcnt vmcnt(0)
	v_mul_f64 v[19:20], v[21:22], v[13:14]
	v_mul_f64 v[19:20], v[21:22], v[19:20]
	v_fma_f64 v[9:10], v[19:20], v[9:10], -v[11:12]
	buffer_store_dword v9, off, s[44:47], 0 offset:856 ; 4-byte Folded Spill
	s_nop 0
	buffer_store_dword v10, off, s[44:47], 0 offset:860 ; 4-byte Folded Spill
	buffer_load_dword v9, off, s[44:47], 0 offset:800 ; 4-byte Folded Reload
	s_nop 0
	buffer_load_dword v10, off, s[44:47], 0 offset:804 ; 4-byte Folded Reload
	buffer_load_dword v11, off, s[44:47], 0 offset:544 ; 4-byte Folded Reload
	;; [unrolled: 1-line block ×15, first 2 shown]
	s_waitcnt vmcnt(12)
	v_mul_f64 v[9:10], v[9:10], v[11:12]
	s_waitcnt vmcnt(6)
	v_mul_f64 v[11:12], v[13:14], v[19:20]
	;; [unrolled: 2-line block ×3, first 2 shown]
	v_mul_f64 v[11:12], v[51:52], v[11:12]
	v_mul_f64 v[59:60], v[55:56], v[11:12]
	buffer_load_dword v9, off, s[44:47], 0 offset:48 ; 4-byte Folded Reload
	buffer_load_dword v10, off, s[44:47], 0 offset:52 ; 4-byte Folded Reload
	;; [unrolled: 1-line block ×4, first 2 shown]
	s_waitcnt vmcnt(0)
	v_mul_f64 v[11:12], v[1:2], v[59:60]
	v_mul_f64 v[19:20], v[9:10], v[19:20]
	v_fma_f64 v[9:10], v[47:48], v[19:20], v[11:12]
	buffer_load_dword v19, off, s[44:47], 0 offset:528 ; 4-byte Folded Reload
	buffer_load_dword v20, off, s[44:47], 0 offset:532 ; 4-byte Folded Reload
	;; [unrolled: 1-line block ×4, first 2 shown]
	s_waitcnt vmcnt(0)
	v_mov_b32_e32 v21, v51
	v_mov_b32_e32 v22, v52
	;; [unrolled: 1-line block ×4, first 2 shown]
	v_mul_f64 v[11:12], v[13:14], v[19:20]
	v_mul_f64 v[11:12], v[51:52], v[11:12]
	v_fma_f64 v[9:10], v[61:62], v[11:12], v[9:10]
	buffer_store_dword v9, off, s[44:47], 0 offset:800 ; 4-byte Folded Spill
	s_nop 0
	buffer_store_dword v10, off, s[44:47], 0 offset:804 ; 4-byte Folded Spill
	buffer_load_dword v9, off, s[44:47], 0 offset:80 ; 4-byte Folded Reload
	s_nop 0
	buffer_load_dword v10, off, s[44:47], 0 offset:84 ; 4-byte Folded Reload
	buffer_load_dword v51, off, s[44:47], 0 offset:560 ; 4-byte Folded Reload
	buffer_load_dword v52, off, s[44:47], 0 offset:564 ; 4-byte Folded Reload
	buffer_load_dword v53, off, s[44:47], 0 offset:568 ; 4-byte Folded Reload
	buffer_load_dword v54, off, s[44:47], 0 offset:572 ; 4-byte Folded Reload
	s_waitcnt vmcnt(0)
	v_mul_f64 v[9:10], v[9:10], v[53:54]
	buffer_store_dword v9, off, s[44:47], 0 offset:1108 ; 4-byte Folded Spill
	s_nop 0
	buffer_store_dword v10, off, s[44:47], 0 offset:1112 ; 4-byte Folded Spill
	buffer_load_dword v11, off, s[44:47], 0 offset:264 ; 4-byte Folded Reload
	buffer_load_dword v12, off, s[44:47], 0 offset:268 ; 4-byte Folded Reload
	s_waitcnt vmcnt(0)
	v_mul_f64 v[9:10], v[11:12], v[51:52]
	buffer_store_dword v9, off, s[44:47], 0 offset:1100 ; 4-byte Folded Spill
	s_nop 0
	buffer_store_dword v10, off, s[44:47], 0 offset:1104 ; 4-byte Folded Spill
	buffer_load_dword v9, off, s[44:47], 0 offset:256 ; 4-byte Folded Reload
	s_nop 0
	buffer_load_dword v10, off, s[44:47], 0 offset:260 ; 4-byte Folded Reload
	s_waitcnt vmcnt(0)
	v_mul_f64 v[13:14], v[9:10], v[53:54]
	buffer_store_dword v13, off, s[44:47], 0 offset:1116 ; 4-byte Folded Spill
	s_nop 0
	buffer_store_dword v14, off, s[44:47], 0 offset:1120 ; 4-byte Folded Spill
	buffer_load_dword v19, off, s[44:47], 0 offset:768 ; 4-byte Folded Reload
	buffer_load_dword v20, off, s[44:47], 0 offset:772 ; 4-byte Folded Reload
	;; [unrolled: 1-line block ×6, first 2 shown]
	s_waitcnt vmcnt(0)
	v_mul_f64 v[13:14], v[19:20], v[53:54]
	v_mul_f64 v[19:20], v[11:12], v[51:52]
	buffer_store_dword v19, off, s[44:47], 0 offset:560 ; 4-byte Folded Spill
	s_nop 0
	buffer_store_dword v20, off, s[44:47], 0 offset:564 ; 4-byte Folded Spill
	v_mul_f64 v[19:20], v[9:10], v[53:54]
	buffer_store_dword v19, off, s[44:47], 0 offset:544 ; 4-byte Folded Spill
	s_nop 0
	buffer_store_dword v20, off, s[44:47], 0 offset:548 ; 4-byte Folded Spill
	buffer_load_dword v51, off, s[44:47], 0 offset:528 ; 4-byte Folded Reload
	buffer_load_dword v52, off, s[44:47], 0 offset:532 ; 4-byte Folded Reload
	;; [unrolled: 1-line block ×4, first 2 shown]
	v_mul_f64 v[13:14], v[23:24], v[13:14]
	s_waitcnt vmcnt(2)
	v_mul_f64 v[59:60], v[11:12], v[51:52]
	s_waitcnt vmcnt(0)
	v_mul_f64 v[19:20], v[9:10], v[53:54]
	buffer_load_dword v9, off, s[44:47], 0 offset:80 ; 4-byte Folded Reload
	buffer_load_dword v10, off, s[44:47], 0 offset:84 ; 4-byte Folded Reload
	s_waitcnt vmcnt(0)
	v_mul_f64 v[11:12], v[9:10], v[53:54]
	buffer_load_dword v9, off, s[44:47], 0 offset:1108 ; 4-byte Folded Reload
	buffer_load_dword v10, off, s[44:47], 0 offset:1112 ; 4-byte Folded Reload
	;; [unrolled: 1-line block ×6, first 2 shown]
	v_mul_f64 v[11:12], v[23:24], v[11:12]
	s_waitcnt vmcnt(4)
	v_mul_f64 v[9:10], v[23:24], v[9:10]
	s_waitcnt vmcnt(0)
	v_mul_f64 v[13:14], v[53:54], v[13:14]
	v_mov_b32_e32 v54, v24
	v_mov_b32_e32 v52, v22
	;; [unrolled: 1-line block ×4, first 2 shown]
	v_mul_f64 v[19:20], v[53:54], v[19:20]
	v_mul_f64 v[9:10], v[49:50], v[9:10]
	;; [unrolled: 1-line block ×4, first 2 shown]
	v_fma_f64 v[9:10], v[43:44], v[13:14], v[9:10]
	v_fma_f64 v[9:10], v[45:46], v[11:12], v[9:10]
	buffer_store_dword v9, off, s[44:47], 0 offset:528 ; 4-byte Folded Spill
	s_nop 0
	buffer_store_dword v10, off, s[44:47], 0 offset:532 ; 4-byte Folded Spill
	buffer_load_dword v9, off, s[44:47], 0 offset:560 ; 4-byte Folded Reload
	s_nop 0
	buffer_load_dword v10, off, s[44:47], 0 offset:564 ; 4-byte Folded Reload
	s_waitcnt vmcnt(0)
	v_mul_f64 v[9:10], v[21:22], v[9:10]
	v_mul_f64 v[21:22], v[51:52], v[59:60]
	v_mul_f64 v[11:12], v[55:56], v[9:10]
	v_mul_f64 v[9:10], v[61:62], v[9:10]
	buffer_load_dword v59, off, s[44:47], 0 offset:48 ; 4-byte Folded Reload
	buffer_load_dword v60, off, s[44:47], 0 offset:52 ; 4-byte Folded Reload
	;; [unrolled: 1-line block ×4, first 2 shown]
	v_mul_f64 v[21:22], v[47:48], v[21:22]
	s_waitcnt vmcnt(2)
	v_fma_f64 v[9:10], v[59:60], v[9:10], v[21:22]
	buffer_store_dword v9, off, s[44:47], 0 offset:256 ; 4-byte Folded Spill
	s_nop 0
	buffer_store_dword v10, off, s[44:47], 0 offset:260 ; 4-byte Folded Spill
	buffer_load_dword v9, off, s[44:47], 0 offset:544 ; 4-byte Folded Reload
	s_nop 0
	buffer_load_dword v10, off, s[44:47], 0 offset:548 ; 4-byte Folded Reload
	s_waitcnt vmcnt(0)
	v_mul_f64 v[9:10], v[53:54], v[9:10]
	v_mul_f64 v[21:22], v[49:50], v[9:10]
	;; [unrolled: 1-line block ×3, first 2 shown]
	v_fma_f64 v[9:10], v[61:62], v[9:10], v[19:20]
	buffer_store_dword v9, off, s[44:47], 0 offset:264 ; 4-byte Folded Spill
	s_nop 0
	buffer_store_dword v10, off, s[44:47], 0 offset:268 ; 4-byte Folded Spill
	buffer_load_dword v13, off, s[44:47], 0 offset:1100 ; 4-byte Folded Reload
	buffer_load_dword v14, off, s[44:47], 0 offset:1104 ; 4-byte Folded Reload
	v_mul_f64 v[9:10], v[59:60], v[11:12]
	v_mul_f64 v[11:12], v[61:62], v[21:22]
	s_waitcnt vmcnt(0)
	v_mul_f64 v[19:20], v[51:52], v[13:14]
	buffer_load_dword v13, off, s[44:47], 0 offset:32 ; 4-byte Folded Reload
	buffer_load_dword v14, off, s[44:47], 0 offset:36 ; 4-byte Folded Reload
	s_waitcnt vmcnt(0)
	v_mul_f64 v[9:10], v[13:14], v[9:10]
	v_mul_f64 v[11:12], v[13:14], v[11:12]
	v_fma_f64 v[9:10], v[47:48], v[19:20], v[9:10]
	buffer_store_dword v9, off, s[44:47], 0 offset:560 ; 4-byte Folded Spill
	s_nop 0
	buffer_store_dword v10, off, s[44:47], 0 offset:564 ; 4-byte Folded Spill
	buffer_load_dword v9, off, s[44:47], 0 offset:1116 ; 4-byte Folded Reload
	s_nop 0
	buffer_load_dword v10, off, s[44:47], 0 offset:1120 ; 4-byte Folded Reload
	s_waitcnt vmcnt(0)
	v_mul_f64 v[9:10], v[53:54], v[9:10]
	v_fma_f64 v[9:10], v[43:44], v[9:10], v[11:12]
	buffer_store_dword v9, off, s[44:47], 0 offset:544 ; 4-byte Folded Spill
	s_nop 0
	buffer_store_dword v10, off, s[44:47], 0 offset:548 ; 4-byte Folded Spill
	buffer_load_dword v9, off, s[44:47], 0 offset:752 ; 4-byte Folded Reload
	s_nop 0
	buffer_load_dword v10, off, s[44:47], 0 offset:756 ; 4-byte Folded Reload
	buffer_load_dword v19, off, s[44:47], 0 offset:1052 ; 4-byte Folded Reload
	;; [unrolled: 1-line block ×13, first 2 shown]
	s_waitcnt vmcnt(8)
	v_mov_b32_e32 v50, v22
	v_mul_f64 v[9:10], v[9:10], v[21:22]
	v_mov_b32_e32 v49, v21
	v_mov_b32_e32 v48, v20
	;; [unrolled: 1-line block ×3, first 2 shown]
	buffer_load_dword v21, off, s[44:47], 0 offset:240 ; 4-byte Folded Reload
	buffer_load_dword v22, off, s[44:47], 0 offset:244 ; 4-byte Folded Reload
	;; [unrolled: 1-line block ×6, first 2 shown]
	s_waitcnt vmcnt(8)
	v_mul_f64 v[11:12], v[43:44], v[61:62]
	v_mov_b32_e32 v56, v48
	s_waitcnt vmcnt(6)
	v_mul_f64 v[9:10], v[45:46], v[9:10]
	v_mov_b32_e32 v55, v47
	v_mul_f64 v[11:12], v[45:46], v[11:12]
	v_mul_f64 v[11:12], v[41:42], v[11:12]
	;; [unrolled: 1-line block ×3, first 2 shown]
	s_waitcnt vmcnt(4)
	v_mul_f64 v[9:10], v[21:22], v[9:10]
	v_fma_f64 v[9:10], v[39:40], v[9:10], v[11:12]
	s_waitcnt vmcnt(0)
	v_mul_f64 v[11:12], v[43:44], v[53:54]
	v_mul_f64 v[11:12], v[45:46], v[11:12]
	v_fma_f64 v[9:10], v[37:38], v[11:12], v[9:10]
	buffer_store_dword v9, off, s[44:47], 0 offset:752 ; 4-byte Folded Spill
	s_nop 0
	buffer_store_dword v10, off, s[44:47], 0 offset:756 ; 4-byte Folded Spill
	buffer_load_dword v23, off, s[44:47], 0 offset:248 ; 4-byte Folded Reload
	buffer_load_dword v24, off, s[44:47], 0 offset:252 ; 4-byte Folded Reload
	s_waitcnt vmcnt(0)
	v_mul_f64 v[9:10], v[23:24], v[49:50]
	v_mul_f64 v[19:20], v[23:24], v[61:62]
	;; [unrolled: 1-line block ×8, first 2 shown]
	v_fma_f64 v[11:12], v[39:40], v[19:20], v[11:12]
	buffer_store_dword v11, off, s[44:47], 0 offset:768 ; 4-byte Folded Spill
	s_nop 0
	buffer_store_dword v12, off, s[44:47], 0 offset:772 ; 4-byte Folded Spill
	v_mul_f64 v[11:12], v[23:24], v[53:54]
	v_mul_f64 v[11:12], v[45:46], v[11:12]
	;; [unrolled: 1-line block ×3, first 2 shown]
	v_fma_f64 v[9:10], v[21:22], v[9:10], v[11:12]
	buffer_store_dword v9, off, s[44:47], 0 offset:240 ; 4-byte Folded Spill
	s_nop 0
	buffer_store_dword v10, off, s[44:47], 0 offset:244 ; 4-byte Folded Spill
	buffer_load_dword v37, off, s[44:47], 0 offset:1020 ; 4-byte Folded Reload
	buffer_load_dword v38, off, s[44:47], 0 offset:1024 ; 4-byte Folded Reload
	;; [unrolled: 1-line block ×10, first 2 shown]
	s_waitcnt vmcnt(8)
	v_mul_f64 v[9:10], v[1:2], v[37:38]
	s_waitcnt vmcnt(4)
	v_fma_f64 v[11:12], v[41:42], 2.0, v[49:50]
	s_waitcnt vmcnt(0)
	v_mul_f64 v[23:24], v[39:40], v[39:40]
	v_mul_f64 v[9:10], v[37:38], v[9:10]
	;; [unrolled: 1-line block ×5, first 2 shown]
	v_fma_f64 v[21:22], v[39:40], v[39:40], v[9:10]
	v_mul_f64 v[19:20], v[47:48], v[19:20]
	v_mul_f64 v[21:22], v[41:42], v[21:22]
	v_fma_f64 v[19:20], v[5:6], v[19:20], v[21:22]
	v_mul_f64 v[21:22], v[5:6], v[47:48]
	v_mul_f64 v[21:22], v[47:48], v[21:22]
	v_fma_f64 v[23:24], v[5:6], v[21:22], v[23:24]
	v_fma_f64 v[9:10], v[5:6], v[21:22], v[9:10]
	v_mul_f64 v[21:22], v[11:12], v[37:38]
	v_mul_f64 v[11:12], v[11:12], v[39:40]
	;; [unrolled: 1-line block ×5, first 2 shown]
	v_fma_f64 v[9:10], v[39:40], v[11:12], v[9:10]
	v_mul_f64 v[21:22], v[37:38], v[21:22]
	v_fma_f64 v[21:22], v[1:2], v[21:22], v[23:24]
	v_add_f64 v[23:24], v[41:42], v[49:50]
	buffer_load_dword v41, off, s[44:47], 0 offset:980 ; 4-byte Folded Reload
	buffer_load_dword v42, off, s[44:47], 0 offset:984 ; 4-byte Folded Reload
	s_waitcnt vmcnt(0)
	v_mul_f64 v[11:12], v[41:42], v[23:24]
	v_mul_f64 v[19:20], v[41:42], v[19:20]
	;; [unrolled: 1-line block ×9, first 2 shown]
	buffer_load_dword v39, off, s[44:47], 0 offset:948 ; 4-byte Folded Reload
	buffer_load_dword v40, off, s[44:47], 0 offset:952 ; 4-byte Folded Reload
	;; [unrolled: 1-line block ×8, first 2 shown]
	v_mul_f64 v[23:24], v[13:14], v[23:24]
	s_waitcnt vmcnt(6)
	v_mul_f64 v[19:20], v[39:40], v[19:20]
	v_mul_f64 v[21:22], v[39:40], v[21:22]
	;; [unrolled: 1-line block ×3, first 2 shown]
	buffer_load_dword v39, off, s[44:47], 0 offset:988 ; 4-byte Folded Reload
	buffer_load_dword v40, off, s[44:47], 0 offset:992 ; 4-byte Folded Reload
	s_waitcnt vmcnt(2)
	v_mul_f64 v[11:12], v[53:54], v[11:12]
	v_mul_f64 v[19:20], v[47:48], v[19:20]
	;; [unrolled: 1-line block ×3, first 2 shown]
	v_fma_f64 v[19:20], v[37:38], v[49:50], v[19:20]
	v_fma_f64 v[21:22], v[37:38], v[47:48], v[21:22]
	v_mul_f64 v[37:38], v[11:12], v[49:50]
	v_fma_f64 v[37:38], v[47:48], v[23:24], v[37:38]
	s_waitcnt vmcnt(0)
	v_fma_f64 v[11:12], v[11:12], v[39:40], v[21:22]
	v_fma_f64 v[9:10], v[39:40], v[9:10], v[37:38]
	buffer_store_dword v11, off, s[44:47], 0 offset:248 ; 4-byte Folded Spill
	s_nop 0
	buffer_store_dword v12, off, s[44:47], 0 offset:252 ; 4-byte Folded Spill
	buffer_store_dword v9, off, s[44:47], 0 offset:48 ; 4-byte Folded Spill
	s_nop 0
	buffer_store_dword v10, off, s[44:47], 0 offset:52 ; 4-byte Folded Spill
	v_fma_f64 v[61:62], v[23:24], v[39:40], v[19:20]
	buffer_load_dword v9, off, s[44:47], 0 offset:504 ; 4-byte Folded Reload
	buffer_load_dword v10, off, s[44:47], 0 offset:508 ; 4-byte Folded Reload
	;; [unrolled: 1-line block ×8, first 2 shown]
	s_waitcnt vmcnt(4)
	v_add_f64 v[9:10], v[11:12], -v[9:10]
	s_waitcnt vmcnt(0)
	v_add_f64 v[19:20], v[19:20], -v[13:14]
	buffer_load_dword v13, off, s[44:47], 0 offset:472 ; 4-byte Folded Reload
	buffer_load_dword v14, off, s[44:47], 0 offset:476 ; 4-byte Folded Reload
	;; [unrolled: 1-line block ×4, first 2 shown]
	v_mul_f64 v[11:12], v[43:44], v[45:46]
	v_mul_f64 v[9:10], v[9:10], s[6:7]
	;; [unrolled: 1-line block ×3, first 2 shown]
	v_fma_f64 v[9:10], v[19:20], s[16:17], -v[9:10]
	s_waitcnt vmcnt(0)
	v_add_f64 v[21:22], v[21:22], -v[13:14]
	buffer_load_dword v13, off, s[44:47], 0 offset:496 ; 4-byte Folded Reload
	buffer_load_dword v14, off, s[44:47], 0 offset:500 ; 4-byte Folded Reload
	;; [unrolled: 1-line block ×4, first 2 shown]
	v_mul_f64 v[21:22], v[21:22], s[6:7]
	s_waitcnt vmcnt(0)
	v_add_f64 v[19:20], v[19:20], -v[13:14]
	buffer_load_dword v13, off, s[44:47], 0 offset:224 ; 4-byte Folded Reload
	buffer_load_dword v14, off, s[44:47], 0 offset:228 ; 4-byte Folded Reload
	;; [unrolled: 1-line block ×6, first 2 shown]
	v_fma_f64 v[19:20], v[19:20], s[16:17], -v[21:22]
	s_waitcnt vmcnt(2)
	v_mul_f64 v[21:22], v[13:14], v[37:38]
	v_mov_b32_e32 v13, v55
	s_waitcnt vmcnt(0)
	v_mov_b32_e32 v46, v40
	v_mov_b32_e32 v45, v39
	;; [unrolled: 1-line block ×3, first 2 shown]
	v_mul_f64 v[21:22], v[37:38], v[21:22]
	v_mul_f64 v[19:20], v[21:22], v[19:20]
	v_fma_f64 v[9:10], v[11:12], v[9:10], -v[19:20]
	buffer_store_dword v9, off, s[44:47], 0 offset:224 ; 4-byte Folded Spill
	s_nop 0
	buffer_store_dword v10, off, s[44:47], 0 offset:228 ; 4-byte Folded Spill
	buffer_load_dword v43, off, s[44:47], 0 offset:696 ; 4-byte Folded Reload
	buffer_load_dword v44, off, s[44:47], 0 offset:700 ; 4-byte Folded Reload
	;; [unrolled: 1-line block ×10, first 2 shown]
	s_waitcnt vmcnt(8)
	v_mul_f64 v[9:10], v[43:44], v[59:60]
	v_mul_f64 v[37:38], v[43:44], v[51:52]
	s_waitcnt vmcnt(4)
	v_mul_f64 v[19:20], v[19:20], v[13:14]
	v_mul_f64 v[11:12], v[23:24], v[59:60]
	;; [unrolled: 1-line block ×4, first 2 shown]
	s_waitcnt vmcnt(0)
	v_mul_f64 v[39:40], v[43:44], v[41:42]
	v_mul_f64 v[59:60], v[41:42], v[9:10]
	;; [unrolled: 1-line block ×4, first 2 shown]
	buffer_store_dword v13, off, s[44:47], 0 offset:480 ; 4-byte Folded Spill
	s_nop 0
	buffer_store_dword v14, off, s[44:47], 0 offset:484 ; 4-byte Folded Spill
	buffer_store_dword v9, off, s[44:47], 0 offset:472 ; 4-byte Folded Spill
	s_nop 0
	buffer_store_dword v10, off, s[44:47], 0 offset:476 ; 4-byte Folded Spill
	v_mul_f64 v[9:10], v[41:42], v[11:12]
	buffer_store_dword v9, off, s[44:47], 0 offset:216 ; 4-byte Folded Spill
	s_nop 0
	buffer_store_dword v10, off, s[44:47], 0 offset:220 ; 4-byte Folded Spill
	v_mul_f64 v[9:10], v[41:42], v[21:22]
	;; [unrolled: 4-line block ×3, first 2 shown]
	buffer_store_dword v9, off, s[44:47], 0 offset:232 ; 4-byte Folded Spill
	s_nop 0
	buffer_store_dword v10, off, s[44:47], 0 offset:236 ; 4-byte Folded Spill
	buffer_load_dword v11, off, s[44:47], 0 offset:80 ; 4-byte Folded Reload
	buffer_load_dword v12, off, s[44:47], 0 offset:84 ; 4-byte Folded Reload
	;; [unrolled: 1-line block ×6, first 2 shown]
	v_mul_f64 v[9:10], v[41:42], v[39:40]
	s_waitcnt vmcnt(4)
	v_mul_f64 v[11:12], v[11:12], v[45:46]
	s_waitcnt vmcnt(0)
	v_add_f64 v[19:20], v[19:20], -v[13:14]
	buffer_load_dword v13, off, s[44:47], 0 offset:376 ; 4-byte Folded Reload
	buffer_load_dword v14, off, s[44:47], 0 offset:380 ; 4-byte Folded Reload
	;; [unrolled: 1-line block ×4, first 2 shown]
	v_mul_f64 v[11:12], v[45:46], v[11:12]
	v_mul_f64 v[19:20], v[19:20], s[6:7]
	s_waitcnt vmcnt(0)
	v_add_f64 v[21:22], v[21:22], -v[13:14]
	buffer_load_dword v13, off, s[44:47], 0 offset:456 ; 4-byte Folded Reload
	buffer_load_dword v14, off, s[44:47], 0 offset:460 ; 4-byte Folded Reload
	;; [unrolled: 1-line block ×4, first 2 shown]
	v_mul_f64 v[21:22], v[21:22], s[6:7]
	s_waitcnt vmcnt(0)
	v_add_f64 v[23:24], v[23:24], -v[13:14]
	buffer_load_dword v13, off, s[44:47], 0 offset:448 ; 4-byte Folded Reload
	buffer_load_dword v14, off, s[44:47], 0 offset:452 ; 4-byte Folded Reload
	;; [unrolled: 1-line block ×4, first 2 shown]
	v_fma_f64 v[21:22], v[23:24], s[16:17], -v[21:22]
	s_waitcnt vmcnt(0)
	v_add_f64 v[37:38], v[37:38], -v[13:14]
	v_fma_f64 v[19:20], v[37:38], s[16:17], -v[19:20]
	v_mul_f64 v[11:12], v[11:12], v[19:20]
	v_fma_f64 v[9:10], v[9:10], v[21:22], -v[11:12]
	buffer_store_dword v9, off, s[44:47], 0 offset:80 ; 4-byte Folded Spill
	s_nop 0
	buffer_store_dword v10, off, s[44:47], 0 offset:84 ; 4-byte Folded Spill
	buffer_load_dword v9, off, s[44:47], 0 offset:352 ; 4-byte Folded Reload
	s_nop 0
	buffer_load_dword v10, off, s[44:47], 0 offset:356 ; 4-byte Folded Reload
	buffer_load_dword v11, off, s[44:47], 0 offset:384 ; 4-byte Folded Reload
	;; [unrolled: 1-line block ×3, first 2 shown]
	s_waitcnt vmcnt(0)
	v_add_f64 v[9:10], v[9:10], -v[11:12]
	buffer_load_dword v11, off, s[44:47], 0 offset:336 ; 4-byte Folded Reload
	buffer_load_dword v12, off, s[44:47], 0 offset:340 ; 4-byte Folded Reload
	;; [unrolled: 1-line block ×4, first 2 shown]
	v_mul_f64 v[9:10], v[9:10], s[6:7]
	s_waitcnt vmcnt(0)
	v_add_f64 v[11:12], v[11:12], -v[13:14]
	buffer_load_dword v13, off, s[44:47], 0 offset:400 ; 4-byte Folded Reload
	buffer_load_dword v14, off, s[44:47], 0 offset:404 ; 4-byte Folded Reload
	;; [unrolled: 1-line block ×4, first 2 shown]
	v_mul_f64 v[11:12], v[11:12], s[6:7]
	s_waitcnt vmcnt(0)
	v_add_f64 v[19:20], v[13:14], -v[19:20]
	buffer_load_dword v13, off, s[44:47], 0 offset:392 ; 4-byte Folded Reload
	buffer_load_dword v14, off, s[44:47], 0 offset:396 ; 4-byte Folded Reload
	;; [unrolled: 1-line block ×4, first 2 shown]
	v_fma_f64 v[11:12], v[19:20], s[16:17], -v[11:12]
	s_waitcnt vmcnt(0)
	v_add_f64 v[21:22], v[13:14], -v[21:22]
	buffer_load_dword v13, off, s[44:47], 0 offset:792 ; 4-byte Folded Reload
	buffer_load_dword v14, off, s[44:47], 0 offset:796 ; 4-byte Folded Reload
	v_fma_f64 v[9:10], v[21:22], s[16:17], -v[9:10]
	s_waitcnt vmcnt(0)
	v_mul_f64 v[9:10], v[13:14], v[9:10]
	buffer_load_dword v13, off, s[44:47], 0 offset:816 ; 4-byte Folded Reload
	buffer_load_dword v14, off, s[44:47], 0 offset:820 ; 4-byte Folded Reload
	s_waitcnt vmcnt(0)
	v_fma_f64 v[9:10], v[13:14], v[11:12], -v[9:10]
	buffer_store_dword v9, off, s[44:47], 0 offset:88 ; 4-byte Folded Spill
	s_nop 0
	buffer_store_dword v10, off, s[44:47], 0 offset:92 ; 4-byte Folded Spill
	buffer_load_dword v9, off, s[44:47], 0 offset:280 ; 4-byte Folded Reload
	s_nop 0
	buffer_load_dword v10, off, s[44:47], 0 offset:284 ; 4-byte Folded Reload
	buffer_load_dword v11, off, s[44:47], 0 offset:296 ; 4-byte Folded Reload
	;; [unrolled: 1-line block ×3, first 2 shown]
	s_waitcnt vmcnt(0)
	v_add_f64 v[9:10], v[9:10], -v[11:12]
	buffer_load_dword v11, off, s[44:47], 0 offset:272 ; 4-byte Folded Reload
	buffer_load_dword v12, off, s[44:47], 0 offset:276 ; 4-byte Folded Reload
	;; [unrolled: 1-line block ×4, first 2 shown]
	v_mul_f64 v[9:10], v[9:10], s[6:7]
	s_waitcnt vmcnt(0)
	v_add_f64 v[11:12], v[11:12], -v[13:14]
	buffer_load_dword v13, off, s[44:47], 0 offset:312 ; 4-byte Folded Reload
	buffer_load_dword v14, off, s[44:47], 0 offset:316 ; 4-byte Folded Reload
	;; [unrolled: 1-line block ×4, first 2 shown]
	v_mul_f64 v[11:12], v[11:12], s[6:7]
	s_waitcnt vmcnt(0)
	v_add_f64 v[19:20], v[13:14], -v[19:20]
	buffer_load_dword v13, off, s[44:47], 0 offset:304 ; 4-byte Folded Reload
	buffer_load_dword v14, off, s[44:47], 0 offset:308 ; 4-byte Folded Reload
	;; [unrolled: 1-line block ×4, first 2 shown]
	v_fma_f64 v[11:12], v[19:20], s[16:17], -v[11:12]
	s_waitcnt vmcnt(0)
	v_add_f64 v[21:22], v[13:14], -v[21:22]
	buffer_load_dword v13, off, s[44:47], 0 offset:784 ; 4-byte Folded Reload
	buffer_load_dword v14, off, s[44:47], 0 offset:788 ; 4-byte Folded Reload
	v_fma_f64 v[9:10], v[21:22], s[16:17], -v[9:10]
	s_waitcnt vmcnt(0)
	v_mul_f64 v[9:10], v[13:14], v[9:10]
	buffer_load_dword v13, off, s[44:47], 0 offset:776 ; 4-byte Folded Reload
	buffer_load_dword v14, off, s[44:47], 0 offset:780 ; 4-byte Folded Reload
	s_waitcnt vmcnt(0)
	v_fma_f64 v[9:10], v[13:14], v[11:12], -v[9:10]
	buffer_store_dword v9, off, s[44:47], 0 offset:200 ; 4-byte Folded Spill
	s_nop 0
	buffer_store_dword v10, off, s[44:47], 0 offset:204 ; 4-byte Folded Spill
	buffer_load_dword v9, off, s[44:47], 0 offset:824 ; 4-byte Folded Reload
	s_nop 0
	buffer_load_dword v10, off, s[44:47], 0 offset:828 ; 4-byte Folded Reload
	s_waitcnt vmcnt(1)
	v_add_co_u32_e32 v37, vcc, s14, v9
	s_waitcnt vmcnt(0)
	v_addc_co_u32_e32 v38, vcc, v0, v10, vcc
	buffer_load_dword v9, off, s[44:47], 0 offset:760 ; 4-byte Folded Reload
	buffer_load_dword v10, off, s[44:47], 0 offset:764 ; 4-byte Folded Reload
	s_waitcnt vmcnt(1)
	v_add_co_u32_e32 v39, vcc, s14, v9
	s_waitcnt vmcnt(0)
	v_addc_co_u32_e32 v40, vcc, v0, v10, vcc
	buffer_load_dword v9, off, s[44:47], 0 offset:808 ; 4-byte Folded Reload
	;; [unrolled: 6-line block ×4, first 2 shown]
	s_waitcnt vmcnt(0)
	v_add_u32_e32 v9, s19, v0
	v_ashrrev_i32_e32 v10, 31, v9
	v_lshlrev_b64 v[9:10], 3, v[9:10]
	v_mov_b32_e32 v0, s15
	v_add_co_u32_e32 v9, vcc, s14, v9
	v_addc_co_u32_e32 v10, vcc, v0, v10, vcc
	buffer_load_dword v0, off, s[44:47], 0 offset:652 ; 4-byte Folded Reload
	s_waitcnt vmcnt(0)
	v_add_u32_e32 v11, s19, v0
	v_ashrrev_i32_e32 v12, 31, v11
	v_lshlrev_b64 v[11:12], 3, v[11:12]
	v_mov_b32_e32 v0, s15
	v_add_co_u32_e32 v11, vcc, s14, v11
	v_addc_co_u32_e32 v12, vcc, v0, v12, vcc
	buffer_load_dword v0, off, s[44:47], 0 offset:656 ; 4-byte Folded Reload
	s_waitcnt vmcnt(0)
	v_add_u32_e32 v19, s19, v0
	v_ashrrev_i32_e32 v20, 31, v19
	v_lshlrev_b64 v[19:20], 3, v[19:20]
	v_mov_b32_e32 v0, s15
	v_add_co_u32_e32 v19, vcc, s14, v19
	v_addc_co_u32_e32 v20, vcc, v0, v20, vcc
	buffer_load_dword v0, off, s[44:47], 0 offset:648 ; 4-byte Folded Reload
	global_load_dwordx2 v[23:24], v[37:38], off
	global_load_dwordx2 v[43:44], v[39:40], off
	;; [unrolled: 1-line block ×4, first 2 shown]
	s_waitcnt vmcnt(0)
	buffer_store_dword v13, off, s[44:47], 0 offset:312 ; 4-byte Folded Spill
	s_nop 0
	buffer_store_dword v14, off, s[44:47], 0 offset:316 ; 4-byte Folded Spill
	buffer_load_dword v37, off, s[44:47], 0 offset:680 ; 4-byte Folded Reload
	buffer_load_dword v38, off, s[44:47], 0 offset:684 ; 4-byte Folded Reload
	;; [unrolled: 1-line block ×4, first 2 shown]
	v_add_u32_e32 v21, s19, v0
	v_ashrrev_i32_e32 v22, 31, v21
	v_lshlrev_b64 v[21:22], 3, v[21:22]
	v_mov_b32_e32 v0, s15
	v_add_co_u32_e32 v21, vcc, s14, v21
	v_addc_co_u32_e32 v22, vcc, v0, v22, vcc
	s_waitcnt vmcnt(2)
	v_mul_f64 v[41:42], v[37:38], v[23:24]
	buffer_load_dword v37, off, s[44:47], 0 offset:660 ; 4-byte Folded Reload
	buffer_load_dword v38, off, s[44:47], 0 offset:664 ; 4-byte Folded Reload
	;; [unrolled: 1-line block ×4, first 2 shown]
	s_waitcnt vmcnt(4)
	v_mul_f64 v[41:42], v[51:52], v[41:42]
	v_mul_f64 v[41:42], v[57:58], v[41:42]
	s_waitcnt vmcnt(2)
	v_mul_f64 v[41:42], v[37:38], v[41:42]
	s_waitcnt vmcnt(0)
	v_mul_f64 v[45:46], v[47:48], v[43:44]
	v_mul_f64 v[41:42], v[53:54], v[41:42]
	;; [unrolled: 1-line block ×3, first 2 shown]
	v_fma_f64 v[13:14], v[17:18], v[45:46], v[41:42]
	buffer_store_dword v13, off, s[44:47], 0 offset:304 ; 4-byte Folded Spill
	s_nop 0
	buffer_store_dword v14, off, s[44:47], 0 offset:308 ; 4-byte Folded Spill
	buffer_load_dword v39, off, s[44:47], 0 offset:192 ; 4-byte Folded Reload
	buffer_load_dword v40, off, s[44:47], 0 offset:196 ; 4-byte Folded Reload
	s_waitcnt vmcnt(0)
	v_mul_f64 v[23:24], v[39:40], v[23:24]
	v_mul_f64 v[41:42], v[39:40], v[43:44]
	v_mov_b32_e32 v43, v53
	v_mov_b32_e32 v44, v54
	v_mul_f64 v[23:24], v[51:52], v[23:24]
	v_mul_f64 v[41:42], v[51:52], v[41:42]
	;; [unrolled: 1-line block ×5, first 2 shown]
	v_fma_f64 v[13:14], v[57:58], v[41:42], v[17:18]
	buffer_store_dword v13, off, s[44:47], 0 offset:272 ; 4-byte Folded Spill
	s_nop 0
	buffer_store_dword v14, off, s[44:47], 0 offset:276 ; 4-byte Folded Spill
	global_load_dwordx2 v[55:56], v[9:10], off
	global_load_dwordx2 v[45:46], v[11:12], off
	s_nop 0
	global_load_dwordx2 v[9:10], v[19:20], off
	s_waitcnt vmcnt(0)
	buffer_store_dword v9, off, s[44:47], 0 offset:296 ; 4-byte Folded Spill
	s_nop 0
	buffer_store_dword v10, off, s[44:47], 0 offset:300 ; 4-byte Folded Spill
	global_load_dwordx2 v[9:10], v[21:22], off
	s_waitcnt vmcnt(0)
	buffer_store_dword v9, off, s[44:47], 0 offset:288 ; 4-byte Folded Spill
	s_nop 0
	buffer_store_dword v10, off, s[44:47], 0 offset:292 ; 4-byte Folded Spill
	v_mul_f64 v[9:10], v[39:40], v[55:56]
	v_mul_f64 v[11:12], v[29:30], v[23:24]
	;; [unrolled: 1-line block ×4, first 2 shown]
	v_mov_b32_e32 v58, v28
	v_mov_b32_e32 v57, v27
	v_fma_f64 v[9:10], v[37:38], v[11:12], v[9:10]
	buffer_store_dword v9, off, s[44:47], 0 offset:280 ; 4-byte Folded Spill
	s_nop 0
	buffer_store_dword v10, off, s[44:47], 0 offset:284 ; 4-byte Folded Spill
	buffer_load_dword v9, off, s[44:47], 0 offset:728 ; 4-byte Folded Reload
	s_nop 0
	buffer_load_dword v10, off, s[44:47], 0 offset:732 ; 4-byte Folded Reload
	s_waitcnt vmcnt(1)
	v_add_co_u32_e32 v39, vcc, s14, v9
	s_waitcnt vmcnt(0)
	v_addc_co_u32_e32 v40, vcc, v0, v10, vcc
	buffer_load_dword v9, off, s[44:47], 0 offset:668 ; 4-byte Folded Reload
	buffer_load_dword v10, off, s[44:47], 0 offset:672 ; 4-byte Folded Reload
	s_waitcnt vmcnt(1)
	v_add_co_u32_e32 v37, vcc, s14, v9
	s_waitcnt vmcnt(0)
	v_addc_co_u32_e32 v38, vcc, v0, v10, vcc
	buffer_load_dword v9, off, s[44:47], 0 offset:688 ; 4-byte Folded Reload
	;; [unrolled: 6-line block ×4, first 2 shown]
	buffer_load_dword v10, off, s[44:47], 0 offset:852 ; 4-byte Folded Reload
	s_waitcnt vmcnt(0)
	v_mul_f64 v[19:20], v[9:10], s[6:7]
	buffer_load_dword v9, off, s[44:47], 0 offset:832 ; 4-byte Folded Reload
	buffer_load_dword v10, off, s[44:47], 0 offset:836 ; 4-byte Folded Reload
	;; [unrolled: 1-line block ×4, first 2 shown]
	s_waitcnt vmcnt(2)
	v_fma_f64 v[19:20], v[9:10], s[16:17], -v[19:20]
	buffer_load_dword v9, off, s[44:47], 0 offset:480 ; 4-byte Folded Reload
	buffer_load_dword v10, off, s[44:47], 0 offset:484 ; 4-byte Folded Reload
	s_waitcnt vmcnt(2)
	v_mul_f64 v[21:22], v[11:12], v[59:60]
	buffer_load_dword v53, off, s[44:47], 0 offset:972 ; 4-byte Folded Reload
	buffer_load_dword v54, off, s[44:47], 0 offset:976 ; 4-byte Folded Reload
	v_mul_f64 v[21:22], v[1:2], v[21:22]
	s_waitcnt vmcnt(2)
	v_mul_f64 v[59:60], v[7:8], v[9:10]
	buffer_load_dword v9, off, s[44:47], 0 offset:840 ; 4-byte Folded Reload
	buffer_load_dword v10, off, s[44:47], 0 offset:844 ; 4-byte Folded Reload
	s_waitcnt vmcnt(2)
	v_fma_f64 v[21:22], v[53:54], v[59:60], v[21:22]
	s_waitcnt vmcnt(0)
	v_mul_f64 v[59:60], v[9:10], s[6:7]
	buffer_load_dword v9, off, s[44:47], 0 offset:856 ; 4-byte Folded Reload
	buffer_load_dword v10, off, s[44:47], 0 offset:860 ; 4-byte Folded Reload
	s_waitcnt vmcnt(0)
	v_fma_f64 v[59:60], v[9:10], s[16:17], -v[59:60]
	buffer_load_dword v9, off, s[44:47], 0 offset:712 ; 4-byte Folded Reload
	buffer_load_dword v10, off, s[44:47], 0 offset:716 ; 4-byte Folded Reload
	s_waitcnt vmcnt(0)
	v_add_f64 v[61:62], v[9:10], v[61:62]
	buffer_load_dword v9, off, s[44:47], 0 offset:720 ; 4-byte Folded Reload
	buffer_load_dword v10, off, s[44:47], 0 offset:724 ; 4-byte Folded Reload
	;; [unrolled: 1-line block ×4, first 2 shown]
	v_add_f64 v[19:20], v[61:62], v[19:20]
	s_waitcnt vmcnt(0)
	v_add_f64 v[9:10], v[9:10], v[13:14]
	buffer_load_dword v13, off, s[44:47], 0 offset:956 ; 4-byte Folded Reload
	buffer_load_dword v14, off, s[44:47], 0 offset:960 ; 4-byte Folded Reload
	;; [unrolled: 1-line block ×4, first 2 shown]
	s_nop 0
	buffer_store_dword v19, off, s[44:47], 0 offset:192 ; 4-byte Folded Spill
	s_nop 0
	buffer_store_dword v20, off, s[44:47], 0 offset:196 ; 4-byte Folded Spill
	v_add_f64 v[9:10], v[9:10], v[59:60]
	buffer_store_dword v9, off, s[44:47], 0 offset:248 ; 4-byte Folded Spill
	s_nop 0
	buffer_store_dword v10, off, s[44:47], 0 offset:252 ; 4-byte Folded Spill
	buffer_load_dword v9, off, s[44:47], 0 offset:800 ; 4-byte Folded Reload
	s_nop 0
	buffer_load_dword v10, off, s[44:47], 0 offset:804 ; 4-byte Folded Reload
	buffer_load_dword v19, off, s[44:47], 0 offset:752 ; 4-byte Folded Reload
	;; [unrolled: 1-line block ×3, first 2 shown]
	s_waitcnt vmcnt(8)
	v_fma_f64 v[21:22], v[13:14], v[41:42], v[21:22]
	s_waitcnt vmcnt(0)
	v_add_f64 v[61:62], v[19:20], -v[9:10]
	buffer_load_dword v9, off, s[44:47], 0 offset:528 ; 4-byte Folded Reload
	buffer_load_dword v10, off, s[44:47], 0 offset:532 ; 4-byte Folded Reload
	v_mul_f64 v[61:62], v[61:62], s[6:7]
	s_waitcnt vmcnt(0)
	v_add_f64 v[19:20], v[21:22], -v[9:10]
	buffer_load_dword v9, off, s[44:47], 0 offset:560 ; 4-byte Folded Reload
	buffer_load_dword v10, off, s[44:47], 0 offset:564 ; 4-byte Folded Reload
	;; [unrolled: 1-line block ×6, first 2 shown]
	s_waitcnt vmcnt(2)
	v_add_f64 v[21:22], v[21:22], -v[9:10]
	buffer_load_dword v9, off, s[44:47], 0 offset:32 ; 4-byte Folded Reload
	buffer_load_dword v10, off, s[44:47], 0 offset:36 ; 4-byte Folded Reload
	s_waitcnt vmcnt(2)
	v_mul_f64 v[59:60], v[11:12], v[41:42]
	v_mul_f64 v[59:60], v[7:8], v[59:60]
	s_waitcnt vmcnt(0)
	v_mul_f64 v[59:60], v[9:10], v[59:60]
	buffer_load_dword v9, off, s[44:47], 0 offset:216 ; 4-byte Folded Reload
	buffer_load_dword v10, off, s[44:47], 0 offset:220 ; 4-byte Folded Reload
	s_waitcnt vmcnt(0)
	v_fma_f64 v[59:60], v[53:54], v[9:10], v[59:60]
	buffer_load_dword v9, off, s[44:47], 0 offset:232 ; 4-byte Folded Reload
	buffer_load_dword v10, off, s[44:47], 0 offset:236 ; 4-byte Folded Reload
	s_waitcnt vmcnt(0)
	v_mul_f64 v[11:12], v[53:54], v[9:10]
	v_mul_f64 v[9:10], v[13:14], v[41:42]
	v_fma_f64 v[13:14], v[19:20], s[16:17], -v[61:62]
	buffer_store_dword v13, off, s[44:47], 0 offset:216 ; 4-byte Folded Spill
	s_nop 0
	buffer_store_dword v14, off, s[44:47], 0 offset:220 ; 4-byte Folded Spill
	buffer_load_dword v13, off, s[44:47], 0 offset:544 ; 4-byte Folded Reload
	s_nop 0
	buffer_load_dword v14, off, s[44:47], 0 offset:548 ; 4-byte Folded Reload
	v_fma_f64 v[7:8], v[7:8], v[9:10], v[11:12]
	v_mul_f64 v[9:10], v[21:22], s[6:7]
	v_mul_f64 v[11:12], v[47:48], v[55:56]
	v_mov_b32_e32 v54, v26
	v_mov_b32_e32 v53, v25
	v_mul_f64 v[11:12], v[51:52], v[11:12]
	v_mul_f64 v[11:12], v[29:30], v[11:12]
	s_waitcnt vmcnt(0)
	v_add_f64 v[19:20], v[59:60], -v[13:14]
	buffer_load_dword v13, off, s[44:47], 0 offset:256 ; 4-byte Folded Reload
	buffer_load_dword v14, off, s[44:47], 0 offset:260 ; 4-byte Folded Reload
	;; [unrolled: 1-line block ×4, first 2 shown]
	v_fma_f64 v[9:10], v[19:20], s[16:17], -v[9:10]
	buffer_store_dword v9, off, s[44:47], 0 offset:232 ; 4-byte Folded Spill
	s_nop 0
	buffer_store_dword v10, off, s[44:47], 0 offset:236 ; 4-byte Folded Spill
	buffer_load_dword v9, off, s[44:47], 0 offset:264 ; 4-byte Folded Reload
	s_nop 0
	buffer_load_dword v10, off, s[44:47], 0 offset:268 ; 4-byte Folded Reload
	s_waitcnt vmcnt(4)
	v_add_f64 v[59:60], v[41:42], -v[13:14]
	s_waitcnt vmcnt(0)
	v_add_f64 v[7:8], v[7:8], -v[9:10]
	v_mul_f64 v[9:10], v[59:60], s[6:7]
	v_fma_f64 v[7:8], v[7:8], s[16:17], -v[9:10]
	buffer_store_dword v7, off, s[44:47], 0 offset:240 ; 4-byte Folded Spill
	s_nop 0
	buffer_store_dword v8, off, s[44:47], 0 offset:244 ; 4-byte Folded Spill
	buffer_load_dword v7, off, s[44:47], 0 offset:224 ; 4-byte Folded Reload
	s_nop 0
	buffer_load_dword v8, off, s[44:47], 0 offset:228 ; 4-byte Folded Reload
	s_waitcnt vmcnt(0)
	v_mul_f64 v[9:10], v[7:8], s[6:7]
	buffer_load_dword v7, off, s[44:47], 0 offset:80 ; 4-byte Folded Reload
	buffer_load_dword v8, off, s[44:47], 0 offset:84 ; 4-byte Folded Reload
	s_waitcnt vmcnt(0)
	v_fma_f64 v[7:8], v[7:8], s[16:17], -v[9:10]
	buffer_store_dword v7, off, s[44:47], 0 offset:80 ; 4-byte Folded Spill
	s_nop 0
	buffer_store_dword v8, off, s[44:47], 0 offset:84 ; 4-byte Folded Spill
	buffer_load_dword v7, off, s[44:47], 0 offset:88 ; 4-byte Folded Reload
	s_nop 0
	buffer_load_dword v8, off, s[44:47], 0 offset:92 ; 4-byte Folded Reload
	s_waitcnt vmcnt(0)
	v_mul_f64 v[9:10], v[7:8], s[6:7]
	buffer_load_dword v7, off, s[44:47], 0 offset:200 ; 4-byte Folded Reload
	buffer_load_dword v8, off, s[44:47], 0 offset:204 ; 4-byte Folded Reload
	s_waitcnt vmcnt(0)
	v_fma_f64 v[7:8], v[7:8], s[16:17], -v[9:10]
	buffer_store_dword v7, off, s[44:47], 0 offset:88 ; 4-byte Folded Spill
	s_nop 0
	buffer_store_dword v8, off, s[44:47], 0 offset:92 ; 4-byte Folded Spill
	buffer_load_dword v7, off, s[44:47], 0 offset:624 ; 4-byte Folded Reload
	s_nop 0
	buffer_load_dword v8, off, s[44:47], 0 offset:628 ; 4-byte Folded Reload
	v_mov_b32_e32 v9, v43
	v_mov_b32_e32 v10, v44
	s_waitcnt vmcnt(0)
	v_mul_f64 v[55:56], v[7:8], v[49:50]
	buffer_load_dword v7, off, s[44:47], 0 offset:72 ; 4-byte Folded Reload
	buffer_load_dword v8, off, s[44:47], 0 offset:76 ; 4-byte Folded Reload
	;; [unrolled: 1-line block ×12, first 2 shown]
	s_waitcnt vmcnt(10)
	v_mul_f64 v[55:56], v[7:8], v[55:56]
	v_mov_b32_e32 v44, v8
	s_waitcnt vmcnt(2)
	v_mul_f64 v[59:60], v[41:42], v[27:28]
	s_waitcnt vmcnt(0)
	v_mul_f64 v[47:48], v[13:14], v[49:50]
	v_mul_f64 v[49:50], v[13:14], v[27:28]
	v_mov_b32_e32 v43, v7
	v_mul_f64 v[55:56], v[57:58], v[55:56]
	v_mul_f64 v[59:60], v[7:8], v[59:60]
	;; [unrolled: 1-line block ×6, first 2 shown]
	v_fma_f64 v[55:56], v[35:36], v[59:60], v[55:56]
	v_mul_f64 v[35:36], v[35:36], v[47:48]
	v_mul_f64 v[35:36], v[19:20], v[35:36]
	;; [unrolled: 1-line block ×3, first 2 shown]
	v_fma_f64 v[7:8], v[57:58], v[49:50], v[35:36]
	buffer_store_dword v7, off, s[44:47], 0 offset:184 ; 4-byte Folded Spill
	s_nop 0
	buffer_store_dword v8, off, s[44:47], 0 offset:188 ; 4-byte Folded Spill
	global_load_dwordx2 v[39:40], v[39:40], off
	s_nop 0
	global_load_dwordx2 v[37:38], v[37:38], off
	s_nop 0
	;; [unrolled: 2-line block ×4, first 2 shown]
	buffer_load_dword v7, off, s[44:47], 0 offset:616 ; 4-byte Folded Reload
	buffer_load_dword v8, off, s[44:47], 0 offset:620 ; 4-byte Folded Reload
	v_mov_b32_e32 v36, v16
	v_mov_b32_e32 v35, v15
	s_waitcnt vmcnt(0)
	v_mul_f64 v[49:50], v[7:8], v[39:40]
	buffer_load_dword v7, off, s[44:47], 0 offset:64 ; 4-byte Folded Reload
	buffer_load_dword v8, off, s[44:47], 0 offset:68 ; 4-byte Folded Reload
	buffer_load_dword v15, off, s[44:47], 0 offset:144 ; 4-byte Folded Reload
	buffer_load_dword v16, off, s[44:47], 0 offset:148 ; 4-byte Folded Reload
	s_waitcnt vmcnt(2)
	v_mul_f64 v[49:50], v[7:8], v[49:50]
	s_waitcnt vmcnt(0)
	v_mul_f64 v[59:60], v[15:16], v[37:38]
	v_mul_f64 v[49:50], v[35:36], v[49:50]
	v_mul_f64 v[59:60], v[7:8], v[59:60]
	v_mul_f64 v[49:50], v[3:4], v[49:50]
	v_mul_f64 v[49:50], v[9:10], v[49:50]
	v_fma_f64 v[61:62], v[33:34], v[59:60], v[49:50]
	buffer_load_dword v59, off, s[44:47], 0 offset:128 ; 4-byte Folded Reload
	buffer_load_dword v60, off, s[44:47], 0 offset:132 ; 4-byte Folded Reload
	s_waitcnt vmcnt(0)
	v_mul_f64 v[39:40], v[59:60], v[39:40]
	v_mul_f64 v[37:38], v[59:60], v[37:38]
	;; [unrolled: 1-line block ×4, first 2 shown]
	v_mov_b32_e32 v40, v8
	v_mov_b32_e32 v39, v7
	v_mul_f64 v[33:34], v[33:34], v[49:50]
	v_mul_f64 v[33:34], v[3:4], v[33:34]
	;; [unrolled: 1-line block ×3, first 2 shown]
	v_fma_f64 v[7:8], v[35:36], v[37:38], v[33:34]
	buffer_store_dword v7, off, s[44:47], 0 offset:176 ; 4-byte Folded Spill
	s_nop 0
	buffer_store_dword v8, off, s[44:47], 0 offset:180 ; 4-byte Folded Spill
	buffer_load_dword v7, off, s[44:47], 0 offset:608 ; 4-byte Folded Reload
	s_nop 0
	buffer_load_dword v8, off, s[44:47], 0 offset:612 ; 4-byte Folded Reload
	buffer_load_dword v27, off, s[44:47], 0 offset:120 ; 4-byte Folded Reload
	;; [unrolled: 1-line block ×5, first 2 shown]
	s_waitcnt vmcnt(4)
	v_mul_f64 v[29:30], v[7:8], v[23:24]
	buffer_load_dword v7, off, s[44:47], 0 offset:136 ; 4-byte Folded Reload
	buffer_load_dword v8, off, s[44:47], 0 offset:140 ; 4-byte Folded Reload
	s_waitcnt vmcnt(2)
	v_mul_f64 v[37:38], v[25:26], v[17:18]
	v_mov_b32_e32 v52, v28
	v_mov_b32_e32 v51, v27
	v_mul_f64 v[29:30], v[27:28], v[29:30]
	v_mul_f64 v[37:38], v[27:28], v[37:38]
	;; [unrolled: 1-line block ×5, first 2 shown]
	v_fma_f64 v[37:38], v[31:32], v[37:38], v[29:30]
	s_waitcnt vmcnt(0)
	v_mul_f64 v[23:24], v[7:8], v[23:24]
	v_mul_f64 v[17:18], v[7:8], v[17:18]
	;; [unrolled: 1-line block ×5, first 2 shown]
	v_mov_b32_e32 v32, v10
	v_mov_b32_e32 v31, v9
	buffer_load_dword v9, off, s[44:47], 0 offset:304 ; 4-byte Folded Reload
	buffer_load_dword v10, off, s[44:47], 0 offset:308 ; 4-byte Folded Reload
	v_mul_f64 v[29:30], v[21:22], v[29:30]
	v_mul_f64 v[29:30], v[31:32], v[29:30]
	v_fma_f64 v[33:34], v[53:54], v[17:18], v[29:30]
	v_mul_f64 v[17:18], v[41:42], v[45:46]
	v_mul_f64 v[17:18], v[43:44], v[17:18]
	s_waitcnt vmcnt(0)
	v_fma_f64 v[29:30], v[31:32], v[11:12], v[9:10]
	buffer_load_dword v9, off, s[44:47], 0 offset:16 ; 4-byte Folded Reload
	buffer_load_dword v10, off, s[44:47], 0 offset:20 ; 4-byte Folded Reload
	v_mov_b32_e32 v11, v31
	v_mov_b32_e32 v12, v32
	v_mul_f64 v[31:32], v[13:14], v[45:46]
	v_mul_f64 v[31:32], v[43:44], v[31:32]
	s_waitcnt vmcnt(0)
	v_mul_f64 v[17:18], v[9:10], v[17:18]
	v_mul_f64 v[27:28], v[9:10], v[47:48]
	buffer_load_dword v9, off, s[44:47], 0 offset:296 ; 4-byte Folded Reload
	buffer_load_dword v10, off, s[44:47], 0 offset:300 ; 4-byte Folded Reload
	v_fma_f64 v[17:18], v[11:12], v[17:18], v[55:56]
	s_waitcnt vmcnt(0)
	v_mul_f64 v[41:42], v[15:16], v[9:10]
	v_mul_f64 v[43:44], v[59:60], v[9:10]
	buffer_load_dword v9, off, s[44:47], 0 offset:288 ; 4-byte Folded Reload
	buffer_load_dword v10, off, s[44:47], 0 offset:292 ; 4-byte Folded Reload
	s_waitcnt vmcnt(0)
	v_mul_f64 v[45:46], v[7:8], v[9:10]
	buffer_load_dword v7, off, s[44:47], 0 offset:8 ; 4-byte Folded Reload
	buffer_load_dword v8, off, s[44:47], 0 offset:12 ; 4-byte Folded Reload
	buffer_load_dword v15, off, s[44:47], 0 ; 4-byte Folded Reload
	buffer_load_dword v16, off, s[44:47], 0 offset:4 ; 4-byte Folded Reload
	v_mul_f64 v[47:48], v[25:26], v[9:10]
	v_mul_f64 v[25:26], v[57:58], v[31:32]
	;; [unrolled: 1-line block ×6, first 2 shown]
	v_fma_f64 v[25:26], v[19:20], v[27:28], v[25:26]
	v_mov_b32_e32 v52, v12
	v_mul_f64 v[9:10], v[35:36], v[41:42]
	v_add_f64 v[19:20], v[29:30], -v[17:18]
	v_mov_b32_e32 v51, v11
	v_mul_f64 v[39:40], v[53:54], v[45:46]
	s_waitcnt vmcnt(2)
	v_mul_f64 v[27:28], v[7:8], v[31:32]
	v_mul_f64 v[13:14], v[7:8], v[49:50]
	s_waitcnt vmcnt(0)
	v_mul_f64 v[31:32], v[15:16], v[43:44]
	v_mul_f64 v[23:24], v[15:16], v[23:24]
	buffer_load_dword v7, off, s[44:47], 0 offset:632 ; 4-byte Folded Reload
	buffer_load_dword v8, off, s[44:47], 0 offset:636 ; 4-byte Folded Reload
	;; [unrolled: 1-line block ×4, first 2 shown]
	v_fma_f64 v[17:18], v[11:12], v[27:28], v[61:62]
	v_fma_f64 v[3:4], v[3:4], v[13:14], v[9:10]
	v_fma_f64 v[27:28], v[11:12], v[31:32], v[37:38]
	v_fma_f64 v[13:14], v[21:22], v[23:24], v[39:40]
	v_add_f64 v[17:18], v[17:18], -v[27:28]
	v_add_f64 v[3:4], v[3:4], -v[13:14]
	s_waitcnt vmcnt(0)
	v_add_f64 v[41:42], v[7:8], v[15:16]
	buffer_load_dword v7, off, s[44:47], 0 offset:272 ; 4-byte Folded Reload
	buffer_load_dword v8, off, s[44:47], 0 offset:276 ; 4-byte Folded Reload
	;; [unrolled: 1-line block ×4, first 2 shown]
	s_waitcnt vmcnt(0)
	v_add_f64 v[35:36], v[7:8], -v[15:16]
	buffer_load_dword v7, off, s[44:47], 0 offset:280 ; 4-byte Folded Reload
	buffer_load_dword v8, off, s[44:47], 0 offset:284 ; 4-byte Folded Reload
	v_mul_f64 v[21:22], v[35:36], s[6:7]
	s_waitcnt vmcnt(0)
	v_add_f64 v[25:26], v[7:8], -v[25:26]
	buffer_load_dword v7, off, s[44:47], 0 offset:32 ; 4-byte Folded Reload
	buffer_load_dword v8, off, s[44:47], 0 offset:36 ; 4-byte Folded Reload
	;; [unrolled: 1-line block ×6, first 2 shown]
	v_mul_f64 v[25:26], v[25:26], s[6:7]
	v_fma_f64 v[3:4], v[3:4], s[16:17], -v[25:26]
	s_waitcnt vmcnt(0)
	v_add_f64 v[15:16], v[11:12], v[9:10]
	buffer_load_dword v9, off, s[44:47], 0 offset:248 ; 4-byte Folded Reload
	buffer_load_dword v10, off, s[44:47], 0 offset:252 ; 4-byte Folded Reload
	;; [unrolled: 1-line block ×4, first 2 shown]
	s_waitcnt vmcnt(0)
	v_add_f64 v[9:10], v[11:12], v[9:10]
	buffer_load_dword v11, off, s[44:47], 0 offset:176 ; 4-byte Folded Reload
	buffer_load_dword v12, off, s[44:47], 0 offset:180 ; 4-byte Folded Reload
	;; [unrolled: 1-line block ×4, first 2 shown]
	s_waitcnt vmcnt(2)
	v_add_f64 v[23:24], v[11:12], -v[33:34]
	s_waitcnt vmcnt(0)
	v_fma_f64 v[13:14], v[7:8], v[13:14], v[15:16]
	buffer_load_dword v15, off, s[44:47], 0 offset:232 ; 4-byte Folded Reload
	buffer_load_dword v16, off, s[44:47], 0 offset:236 ; 4-byte Folded Reload
	v_mul_f64 v[11:12], v[19:20], s[6:7]
	v_fma_f64 v[11:12], v[17:18], s[16:17], -v[11:12]
	s_waitcnt vmcnt(0)
	v_add_f64 v[15:16], v[9:10], v[15:16]
	buffer_load_dword v9, off, s[44:47], 0 offset:240 ; 4-byte Folded Reload
	buffer_load_dword v10, off, s[44:47], 0 offset:244 ; 4-byte Folded Reload
	v_add_f64 v[25:26], v[15:16], v[11:12]
	buffer_load_dword v11, off, s[44:47], 0 offset:24 ; 4-byte Folded Reload
	buffer_load_dword v12, off, s[44:47], 0 offset:28 ; 4-byte Folded Reload
	s_waitcnt vmcnt(2)
	v_fma_f64 v[19:20], v[7:8], v[9:10], v[41:42]
	v_fma_f64 v[7:8], v[23:24], s[16:17], -v[21:22]
	v_fma_f64 v[23:24], v[51:52], v[3:4], v[19:20]
	v_add_f64 v[48:49], v[13:14], v[7:8]
	s_waitcnt vmcnt(1)
	v_subrev_u32_e32 v7, s22, v11
	buffer_load_dword v11, off, s[44:47], 0 offset:876 ; 4-byte Folded Reload
	buffer_load_dword v12, off, s[44:47], 0 offset:880 ; 4-byte Folded Reload
	s_waitcnt vmcnt(1)
	v_subrev_u32_e32 v9, s22, v11
	buffer_load_dword v11, off, s[44:47], 0 offset:884 ; 4-byte Folded Reload
	buffer_load_dword v12, off, s[44:47], 0 offset:888 ; 4-byte Folded Reload
	;; [unrolled: 4-line block ×3, first 2 shown]
	buffer_load_dword v60, off, s[44:47], 0 offset:864 ; 4-byte Folded Reload
	buffer_load_dword v61, off, s[44:47], 0 offset:892 ; 4-byte Folded Reload
	;; [unrolled: 1-line block ×14, first 2 shown]
	s_waitcnt vmcnt(15)
	v_subrev_u32_e32 v42, s22, v11
.LBB4_11:                               ; =>This Inner Loop Header: Depth=1
	s_waitcnt vmcnt(6)
	v_ashrrev_i32_e32 v59, 31, v58
	v_lshlrev_b64 v[11:12], 3, v[58:59]
	v_mov_b32_e32 v0, s1
	v_add_co_u32_e32 v11, vcc, s0, v11
	buffer_store_dword v9, off, s[44:47], 0 offset:16 ; 4-byte Folded Spill
	buffer_store_dword v7, off, s[44:47], 0 offset:8 ; 4-byte Folded Spill
	buffer_store_dword v23, off, s[44:47], 0 ; 4-byte Folded Spill
	s_nop 0
	buffer_store_dword v24, off, s[44:47], 0 offset:4 ; 4-byte Folded Spill
	v_addc_co_u32_e32 v12, vcc, v0, v12, vcc
	global_load_dwordx2 v[10:11], v[11:12], off
	v_add_u32_e32 v13, s33, v41
	v_ashrrev_i32_e32 v14, 31, v13
	v_lshlrev_b64 v[15:16], 3, v[13:14]
	v_mov_b32_e32 v0, s11
	v_add_co_u32_e32 v13, vcc, s10, v15
	v_addc_co_u32_e32 v14, vcc, v0, v16, vcc
	v_mov_b32_e32 v0, s13
	v_mov_b32_e32 v43, s9
	v_mov_b32_e32 v39, v48
	v_mov_b32_e32 v40, v49
	s_waitcnt vmcnt(9)
	v_mov_b32_e32 v59, v53
	s_add_i32 s34, s34, 1
	v_add_u32_e32 v41, s18, v41
	v_add_u32_e32 v58, -6, v58
	s_cmp_ge_i32 s34, s20
	s_waitcnt vmcnt(0)
	buffer_store_dword v10, off, s[44:47], 0 offset:24 ; 4-byte Folded Spill
	s_nop 0
	buffer_store_dword v11, off, s[44:47], 0 offset:28 ; 4-byte Folded Spill
	global_load_dwordx2 v[27:28], v[13:14], off
	v_add_co_u32_e32 v13, vcc, s12, v15
	v_addc_co_u32_e32 v14, vcc, v0, v16, vcc
	global_load_dwordx2 v[17:18], v[13:14], off
	v_add_u32_e32 v13, s33, v42
	v_ashrrev_i32_e32 v14, 31, v13
	v_lshlrev_b64 v[23:24], 3, v[13:14]
	v_mov_b32_e32 v0, s15
	v_add_co_u32_e32 v13, vcc, s14, v23
	v_addc_co_u32_e32 v14, vcc, v0, v24, vcc
	global_load_dwordx2 v[31:32], v[13:14], off
	v_add_co_u32_e32 v13, vcc, s14, v15
	v_addc_co_u32_e32 v14, vcc, v0, v16, vcc
	global_load_dwordx2 v[13:14], v[13:14], off
	v_mov_b32_e32 v11, v25
	v_mov_b32_e32 v12, v26
	v_add_co_u32_e32 v15, vcc, s8, v15
	v_addc_co_u32_e32 v16, vcc, v43, v16, vcc
	v_add_u32_e32 v42, s18, v42
	s_waitcnt vmcnt(2)
	v_fma_f64 v[25:26], v[27:28], 2.0, v[17:18]
	s_waitcnt vmcnt(1)
	v_mul_f64 v[19:20], v[25:26], v[31:32]
	s_waitcnt vmcnt(0)
	v_mul_f64 v[29:30], v[19:20], v[13:14]
	global_load_dwordx4 v[19:22], v[15:16], off offset:8
	global_load_dwordx4 v[33:36], v[15:16], off offset:-16
	s_waitcnt vmcnt(0)
	v_add_f64 v[15:16], v[21:22], -v[33:34]
	v_add_f64 v[19:20], v[19:20], -v[35:36]
	v_mul_f64 v[15:16], v[15:16], s[6:7]
	v_fma_f64 v[19:20], v[19:20], s[16:17], -v[15:16]
	v_mul_f64 v[15:16], v[29:30], v[19:20]
	v_mul_f64 v[29:30], v[5:6], v[15:16]
	v_add_u32_e32 v15, s33, v7
	v_ashrrev_i32_e32 v16, 31, v15
	v_lshlrev_b64 v[21:22], 3, v[15:16]
	v_add_co_u32_e32 v15, vcc, s14, v21
	v_addc_co_u32_e32 v16, vcc, v0, v22, vcc
	v_add_co_u32_e32 v23, vcc, s8, v23
	v_addc_co_u32_e32 v24, vcc, v43, v24, vcc
	global_load_dwordx2 v[33:34], v[15:16], off
	global_load_dwordx4 v[35:38], v[23:24], off offset:8
	global_load_dwordx4 v[44:47], v[23:24], off offset:-16
	buffer_load_dword v7, off, s[44:47], 0 offset:32 ; 4-byte Folded Reload
	buffer_load_dword v8, off, s[44:47], 0 offset:36 ; 4-byte Folded Reload
	s_waitcnt vmcnt(4)
	v_mul_f64 v[15:16], v[27:28], v[33:34]
	s_waitcnt vmcnt(2)
	v_add_f64 v[23:24], v[37:38], -v[44:45]
	v_add_f64 v[35:36], v[35:36], -v[46:47]
	v_mul_f64 v[25:26], v[25:26], v[33:34]
	v_mul_f64 v[15:16], v[13:14], v[15:16]
	;; [unrolled: 1-line block ×4, first 2 shown]
	v_fma_f64 v[37:38], v[35:36], s[16:17], -v[23:24]
	v_mul_f64 v[23:24], v[15:16], v[37:38]
	s_waitcnt vmcnt(0)
	v_fma_f64 v[35:36], v[7:8], v[29:30], v[23:24]
	v_add_u32_e32 v23, s33, v9
	v_ashrrev_i32_e32 v24, 31, v23
	v_lshlrev_b64 v[23:24], 3, v[23:24]
	v_add_co_u32_e32 v23, vcc, s14, v23
	v_addc_co_u32_e32 v24, vcc, v0, v24, vcc
	v_add_co_u32_e32 v21, vcc, s8, v21
	v_addc_co_u32_e32 v22, vcc, v43, v22, vcc
	global_load_dwordx4 v[44:47], v[21:22], off offset:8
	global_load_dwordx4 v[48:51], v[21:22], off offset:-16
	v_mov_b32_e32 v0, v52
	global_load_dwordx2 v[23:24], v[23:24], off
	s_waitcnt vmcnt(1)
	v_add_f64 v[21:22], v[46:47], -v[48:49]
	v_add_f64 v[44:45], v[44:45], -v[50:51]
	s_waitcnt vmcnt(0)
	v_mul_f64 v[29:30], v[27:28], v[23:24]
	v_add_u32_e32 v46, s33, v57
	v_ashrrev_i32_e32 v47, 31, v46
	v_lshlrev_b64 v[46:47], 3, v[46:47]
	v_add_u32_e32 v48, s33, v55
	v_ashrrev_i32_e32 v49, 31, v48
	v_mul_f64 v[21:22], v[21:22], s[6:7]
	v_lshlrev_b64 v[48:49], 3, v[48:49]
	v_mul_f64 v[29:30], v[13:14], v[29:30]
	v_add_u32_e32 v50, s33, v3
	v_ashrrev_i32_e32 v51, 31, v50
	v_lshlrev_b64 v[50:51], 3, v[50:51]
	v_mul_f64 v[27:28], v[27:28], v[31:32]
	v_add_u32_e32 v55, s18, v55
	v_fma_f64 v[21:22], v[44:45], s[16:17], -v[21:22]
	v_add_u32_e32 v57, s18, v57
	v_add_u32_e32 v3, s18, v3
	v_mul_f64 v[27:28], v[27:28], v[13:14]
	v_mul_f64 v[44:45], v[29:30], v[21:22]
	v_fma_f64 v[35:36], v[7:8], v[44:45], v[35:36]
	v_add_u32_e32 v44, s33, v63
	v_ashrrev_i32_e32 v45, 31, v44
	v_lshlrev_b64 v[44:45], 3, v[44:45]
	v_add_u32_e32 v63, s18, v63
	v_add_co_u32_e32 v44, vcc, s8, v44
	v_addc_co_u32_e32 v45, vcc, v43, v45, vcc
	v_add_co_u32_e32 v46, vcc, s8, v46
	v_addc_co_u32_e32 v47, vcc, v43, v47, vcc
	global_load_dwordx2 v[44:45], v[44:45], off
	s_nop 0
	global_load_dwordx2 v[46:47], v[46:47], off
	s_waitcnt vmcnt(0)
	v_add_f64 v[44:45], v[44:45], -v[46:47]
	v_add_u32_e32 v46, s33, v60
	v_ashrrev_i32_e32 v47, 31, v46
	v_lshlrev_b64 v[46:47], 3, v[46:47]
	v_add_u32_e32 v60, s18, v60
	v_add_co_u32_e32 v46, vcc, s8, v46
	v_addc_co_u32_e32 v47, vcc, v43, v47, vcc
	v_add_co_u32_e32 v48, vcc, s8, v48
	v_addc_co_u32_e32 v49, vcc, v43, v49, vcc
	global_load_dwordx2 v[46:47], v[46:47], off
	v_mul_f64 v[44:45], v[44:45], s[6:7]
	global_load_dwordx2 v[48:49], v[48:49], off
	s_nop 0
	buffer_load_dword v9, off, s[44:47], 0 offset:40 ; 4-byte Folded Reload
	buffer_load_dword v10, off, s[44:47], 0 offset:44 ; 4-byte Folded Reload
	s_waitcnt vmcnt(2)
	v_add_f64 v[46:47], v[46:47], -v[48:49]
	v_fma_f64 v[44:45], v[46:47], s[16:17], -v[44:45]
	v_mul_f64 v[46:47], v[15:16], v[44:45]
	v_mul_f64 v[46:47], v[1:2], v[46:47]
	s_waitcnt vmcnt(0)
	v_fma_f64 v[46:47], v[9:10], v[46:47], v[35:36]
	v_mul_f64 v[35:36], v[17:18], v[31:32]
	v_mul_f64 v[31:32], v[27:28], v[37:38]
	v_add_u32_e32 v37, s33, v56
	v_ashrrev_i32_e32 v38, 31, v37
	v_lshlrev_b64 v[37:38], 3, v[37:38]
	v_add_u32_e32 v56, s18, v56
	v_mul_f64 v[48:49], v[35:36], v[13:14]
	v_add_u32_e32 v35, s33, v52
	v_ashrrev_i32_e32 v36, 31, v35
	v_lshlrev_b64 v[35:36], 3, v[35:36]
	v_add_u32_e32 v52, s33, v53
	v_add_co_u32_e32 v35, vcc, s8, v35
	v_addc_co_u32_e32 v36, vcc, v43, v36, vcc
	v_add_co_u32_e32 v50, vcc, s8, v50
	v_addc_co_u32_e32 v51, vcc, v43, v51, vcc
	global_load_dwordx2 v[35:36], v[35:36], off
	v_ashrrev_i32_e32 v53, 31, v52
	global_load_dwordx2 v[50:51], v[50:51], off
	v_lshlrev_b64 v[52:53], 3, v[52:53]
	v_mul_f64 v[31:32], v[5:6], v[31:32]
	v_mul_f64 v[31:32], v[7:8], v[31:32]
	s_waitcnt vmcnt(0)
	v_add_f64 v[35:36], v[35:36], -v[50:51]
	v_add_u32_e32 v50, s33, v61
	v_ashrrev_i32_e32 v51, 31, v50
	v_lshlrev_b64 v[50:51], 3, v[50:51]
	v_add_u32_e32 v61, s18, v61
	v_add_co_u32_e32 v50, vcc, s8, v50
	v_addc_co_u32_e32 v51, vcc, v43, v51, vcc
	v_add_co_u32_e32 v52, vcc, s8, v52
	v_addc_co_u32_e32 v53, vcc, v43, v53, vcc
	global_load_dwordx2 v[50:51], v[50:51], off
	v_mul_f64 v[35:36], v[35:36], s[6:7]
	global_load_dwordx2 v[52:53], v[52:53], off
	s_waitcnt vmcnt(0)
	v_add_f64 v[50:51], v[50:51], -v[52:53]
	v_mov_b32_e32 v53, v59
	v_mov_b32_e32 v52, v0
	v_add_u32_e32 v53, s18, v53
	v_add_u32_e32 v52, s18, v52
	v_fma_f64 v[35:36], v[50:51], s[16:17], -v[35:36]
	v_fma_f64 v[46:47], v[48:49], v[35:36], v[46:47]
	v_mov_b32_e32 v49, v40
	v_mov_b32_e32 v48, v39
	buffer_load_dword v39, off, s[44:47], 0 offset:24 ; 4-byte Folded Reload
	buffer_load_dword v40, off, s[44:47], 0 offset:28 ; 4-byte Folded Reload
	v_mul_f64 v[25:26], v[25:26], v[35:36]
	v_mul_f64 v[25:26], v[1:2], v[25:26]
	s_waitcnt vmcnt(0)
	v_fma_f64 v[48:49], -v[39:40], v[46:47], v[48:49]
	v_mul_f64 v[46:47], v[17:18], v[33:34]
	v_add_u32_e32 v33, s33, v4
	v_ashrrev_i32_e32 v34, 31, v33
	v_lshlrev_b64 v[33:34], 3, v[33:34]
	v_mul_f64 v[17:18], v[17:18], v[23:24]
	v_add_u32_e32 v4, s18, v4
	v_mul_f64 v[46:47], v[13:14], v[46:47]
	v_mul_f64 v[13:14], v[13:14], v[17:18]
	v_fma_f64 v[31:32], v[46:47], v[19:20], v[31:32]
	v_mul_f64 v[17:18], v[19:20], v[13:14]
	v_mul_f64 v[19:20], v[27:28], v[21:22]
	;; [unrolled: 1-line block ×3, first 2 shown]
	v_fma_f64 v[31:32], v[27:28], v[44:45], v[31:32]
	v_mul_f64 v[19:20], v[5:6], v[19:20]
	v_fma_f64 v[25:26], v[9:10], v[25:26], v[31:32]
	v_add_u32_e32 v31, s33, v54
	v_ashrrev_i32_e32 v32, 31, v31
	v_lshlrev_b64 v[31:32], 3, v[31:32]
	v_add_u32_e32 v54, s18, v54
	v_add_co_u32_e32 v31, vcc, s8, v31
	v_addc_co_u32_e32 v32, vcc, v43, v32, vcc
	v_add_co_u32_e32 v33, vcc, s8, v33
	v_addc_co_u32_e32 v34, vcc, v43, v34, vcc
	global_load_dwordx2 v[31:32], v[31:32], off
	v_mul_f64 v[19:20], v[7:8], v[19:20]
	global_load_dwordx2 v[33:34], v[33:34], off
	v_fma_f64 v[17:18], v[7:8], v[17:18], v[19:20]
	s_waitcnt vmcnt(0)
	v_add_f64 v[31:32], v[31:32], -v[33:34]
	v_add_u32_e32 v33, s33, v62
	v_ashrrev_i32_e32 v34, 31, v33
	v_lshlrev_b64 v[33:34], 3, v[33:34]
	v_add_u32_e32 v62, s18, v62
	v_add_co_u32_e32 v33, vcc, s8, v33
	v_addc_co_u32_e32 v34, vcc, v43, v34, vcc
	v_add_co_u32_e32 v37, vcc, s8, v37
	v_addc_co_u32_e32 v38, vcc, v43, v38, vcc
	global_load_dwordx2 v[33:34], v[33:34], off
	v_mul_f64 v[31:32], v[31:32], s[6:7]
	global_load_dwordx2 v[37:38], v[37:38], off
	s_nop 0
	buffer_load_dword v23, off, s[44:47], 0 ; 4-byte Folded Reload
	buffer_load_dword v24, off, s[44:47], 0 offset:4 ; 4-byte Folded Reload
	buffer_load_dword v7, off, s[44:47], 0 offset:8 ; 4-byte Folded Reload
	s_waitcnt vmcnt(3)
	v_add_f64 v[33:34], v[33:34], -v[37:38]
	v_fma_f64 v[31:32], v[33:34], s[16:17], -v[31:32]
	v_mul_f64 v[15:16], v[15:16], v[31:32]
	v_mul_f64 v[29:30], v[29:30], v[31:32]
	;; [unrolled: 1-line block ×3, first 2 shown]
	v_fma_f64 v[25:26], v[9:10], v[29:30], v[25:26]
	v_fma_f64 v[15:16], v[9:10], v[15:16], v[17:18]
	v_fma_f64 v[25:26], -v[39:40], v[25:26], v[11:12]
	v_fma_f64 v[13:14], v[9:10], v[13:14], v[15:16]
	buffer_load_dword v9, off, s[44:47], 0 offset:16 ; 4-byte Folded Reload
	s_waitcnt vmcnt(1)
	v_add_u32_e32 v7, s18, v7
	v_fma_f64 v[23:24], -v[39:40], v[13:14], v[23:24]
	s_waitcnt vmcnt(0)
	v_add_u32_e32 v9, s18, v9
	s_cbranch_scc0 .LBB4_11
; %bb.12:
	buffer_load_dword v21, off, s[44:47], 0 offset:584 ; 4-byte Folded Reload
	buffer_load_dword v22, off, s[44:47], 0 offset:588 ; 4-byte Folded Reload
	;; [unrolled: 1-line block ×4, first 2 shown]
	v_mul_f64 v[0:1], v[5:6], v[1:2]
	v_mov_b32_e32 v2, s3
	s_load_dwordx4 s[8:11], s[4:5], 0x38
	s_waitcnt lgkmcnt(0)
	v_mul_f64 v[9:10], s[10:11], v[48:49]
	v_mul_f64 v[7:8], s[10:11], v[25:26]
	s_waitcnt vmcnt(1)
	v_add_co_u32_e32 v11, vcc, s2, v11
	v_div_scale_f64 v[5:6], s[0:1], v[21:22], v[21:22], v[0:1]
	s_waitcnt vmcnt(0)
	v_addc_co_u32_e32 v12, vcc, v2, v12, vcc
	global_load_dwordx2 v[13:14], v[11:12], off
	v_rcp_f64_e32 v[15:16], v[5:6]
	v_fma_f64 v[17:18], -v[5:6], v[15:16], 1.0
	v_fma_f64 v[15:16], v[15:16], v[17:18], v[15:16]
	v_div_scale_f64 v[17:18], vcc, v[0:1], v[21:22], v[0:1]
	v_fma_f64 v[19:20], -v[5:6], v[15:16], 1.0
	v_fma_f64 v[15:16], v[15:16], v[19:20], v[15:16]
	v_mul_f64 v[19:20], v[17:18], v[15:16]
	v_fma_f64 v[5:6], -v[5:6], v[19:20], v[17:18]
	v_div_fmas_f64 v[5:6], v[5:6], v[15:16], v[19:20]
	s_waitcnt vmcnt(0)
	v_mul_f64 v[13:14], s[8:9], v[13:14]
	v_div_fixup_f64 v[0:1], v[5:6], v[21:22], v[0:1]
	v_fma_f64 v[5:6], v[0:1], v[9:10], v[13:14]
	buffer_load_dword v9, off, s[44:47], 0 offset:104 ; 4-byte Folded Reload
	buffer_load_dword v10, off, s[44:47], 0 offset:108 ; 4-byte Folded Reload
	s_waitcnt vmcnt(1)
	v_add_co_u32_e32 v9, vcc, s2, v9
	s_waitcnt vmcnt(0)
	v_addc_co_u32_e32 v10, vcc, v2, v10, vcc
	global_store_dwordx2 v[11:12], v[5:6], off
	global_load_dwordx2 v[5:6], v[9:10], off
	s_waitcnt vmcnt(0)
	v_mul_f64 v[5:6], s[8:9], v[5:6]
	v_fma_f64 v[5:6], v[0:1], v[7:8], v[5:6]
	buffer_load_dword v7, off, s[44:47], 0 offset:112 ; 4-byte Folded Reload
	buffer_load_dword v8, off, s[44:47], 0 offset:116 ; 4-byte Folded Reload
	s_waitcnt vmcnt(1)
	v_add_co_u32_e32 v7, vcc, s2, v7
	s_waitcnt vmcnt(0)
	v_addc_co_u32_e32 v8, vcc, v2, v8, vcc
	global_store_dwordx2 v[9:10], v[5:6], off
	global_load_dwordx2 v[5:6], v[7:8], off
	v_mul_f64 v[2:3], s[10:11], v[23:24]
	s_waitcnt vmcnt(0)
	v_mul_f64 v[5:6], s[8:9], v[5:6]
	v_fma_f64 v[0:1], v[0:1], v[2:3], v[5:6]
	global_store_dwordx2 v[7:8], v[0:1], off
.LBB4_13:
	s_endpgm
	.section	.rodata,"a",@progbits
	.p2align	6, 0x0
	.amdhsa_kernel _Z7kernel5iiiiiiiiiiiiiddPKdS0_S0_S0_S0_PdS0_S0_S0_S0_S0_S0_S0_
		.amdhsa_group_segment_fixed_size 0
		.amdhsa_private_segment_fixed_size 1128
		.amdhsa_kernarg_size 432
		.amdhsa_user_sgpr_count 6
		.amdhsa_user_sgpr_private_segment_buffer 1
		.amdhsa_user_sgpr_dispatch_ptr 0
		.amdhsa_user_sgpr_queue_ptr 0
		.amdhsa_user_sgpr_kernarg_segment_ptr 1
		.amdhsa_user_sgpr_dispatch_id 0
		.amdhsa_user_sgpr_flat_scratch_init 0
		.amdhsa_user_sgpr_private_segment_size 0
		.amdhsa_uses_dynamic_stack 0
		.amdhsa_system_sgpr_private_segment_wavefront_offset 1
		.amdhsa_system_sgpr_workgroup_id_x 1
		.amdhsa_system_sgpr_workgroup_id_y 1
		.amdhsa_system_sgpr_workgroup_id_z 1
		.amdhsa_system_sgpr_workgroup_info 0
		.amdhsa_system_vgpr_workitem_id 2
		.amdhsa_next_free_vgpr 64
		.amdhsa_next_free_sgpr 48
		.amdhsa_reserve_vcc 1
		.amdhsa_reserve_flat_scratch 0
		.amdhsa_float_round_mode_32 0
		.amdhsa_float_round_mode_16_64 0
		.amdhsa_float_denorm_mode_32 3
		.amdhsa_float_denorm_mode_16_64 3
		.amdhsa_dx10_clamp 1
		.amdhsa_ieee_mode 1
		.amdhsa_fp16_overflow 0
		.amdhsa_exception_fp_ieee_invalid_op 0
		.amdhsa_exception_fp_denorm_src 0
		.amdhsa_exception_fp_ieee_div_zero 0
		.amdhsa_exception_fp_ieee_overflow 0
		.amdhsa_exception_fp_ieee_underflow 0
		.amdhsa_exception_fp_ieee_inexact 0
		.amdhsa_exception_int_div_zero 0
	.end_amdhsa_kernel
	.text
.Lfunc_end4:
	.size	_Z7kernel5iiiiiiiiiiiiiddPKdS0_S0_S0_S0_PdS0_S0_S0_S0_S0_S0_S0_, .Lfunc_end4-_Z7kernel5iiiiiiiiiiiiiddPKdS0_S0_S0_S0_PdS0_S0_S0_S0_S0_S0_S0_
                                        ; -- End function
	.set _Z7kernel5iiiiiiiiiiiiiddPKdS0_S0_S0_S0_PdS0_S0_S0_S0_S0_S0_S0_.num_vgpr, 64
	.set _Z7kernel5iiiiiiiiiiiiiddPKdS0_S0_S0_S0_PdS0_S0_S0_S0_S0_S0_S0_.num_agpr, 0
	.set _Z7kernel5iiiiiiiiiiiiiddPKdS0_S0_S0_S0_PdS0_S0_S0_S0_S0_S0_S0_.numbered_sgpr, 48
	.set _Z7kernel5iiiiiiiiiiiiiddPKdS0_S0_S0_S0_PdS0_S0_S0_S0_S0_S0_S0_.num_named_barrier, 0
	.set _Z7kernel5iiiiiiiiiiiiiddPKdS0_S0_S0_S0_PdS0_S0_S0_S0_S0_S0_S0_.private_seg_size, 1128
	.set _Z7kernel5iiiiiiiiiiiiiddPKdS0_S0_S0_S0_PdS0_S0_S0_S0_S0_S0_S0_.uses_vcc, 1
	.set _Z7kernel5iiiiiiiiiiiiiddPKdS0_S0_S0_S0_PdS0_S0_S0_S0_S0_S0_S0_.uses_flat_scratch, 0
	.set _Z7kernel5iiiiiiiiiiiiiddPKdS0_S0_S0_S0_PdS0_S0_S0_S0_S0_S0_S0_.has_dyn_sized_stack, 0
	.set _Z7kernel5iiiiiiiiiiiiiddPKdS0_S0_S0_S0_PdS0_S0_S0_S0_S0_S0_S0_.has_recursion, 0
	.set _Z7kernel5iiiiiiiiiiiiiddPKdS0_S0_S0_S0_PdS0_S0_S0_S0_S0_S0_S0_.has_indirect_call, 0
	.section	.AMDGPU.csdata,"",@progbits
; Kernel info:
; codeLenInByte = 23400
; TotalNumSgprs: 52
; NumVgprs: 64
; ScratchSize: 1128
; MemoryBound: 0
; FloatMode: 240
; IeeeMode: 1
; LDSByteSize: 0 bytes/workgroup (compile time only)
; SGPRBlocks: 6
; VGPRBlocks: 15
; NumSGPRsForWavesPerEU: 52
; NumVGPRsForWavesPerEU: 64
; Occupancy: 4
; WaveLimiterHint : 0
; COMPUTE_PGM_RSRC2:SCRATCH_EN: 1
; COMPUTE_PGM_RSRC2:USER_SGPR: 6
; COMPUTE_PGM_RSRC2:TRAP_HANDLER: 0
; COMPUTE_PGM_RSRC2:TGID_X_EN: 1
; COMPUTE_PGM_RSRC2:TGID_Y_EN: 1
; COMPUTE_PGM_RSRC2:TGID_Z_EN: 1
; COMPUTE_PGM_RSRC2:TIDIG_COMP_CNT: 2
	.section	.AMDGPU.gpr_maximums,"",@progbits
	.set amdgpu.max_num_vgpr, 0
	.set amdgpu.max_num_agpr, 0
	.set amdgpu.max_num_sgpr, 0
	.section	.AMDGPU.csdata,"",@progbits
	.type	__hip_cuid_a6bd8a9e7a1cb5e4,@object ; @__hip_cuid_a6bd8a9e7a1cb5e4
	.section	.bss,"aw",@nobits
	.globl	__hip_cuid_a6bd8a9e7a1cb5e4
__hip_cuid_a6bd8a9e7a1cb5e4:
	.byte	0                               ; 0x0
	.size	__hip_cuid_a6bd8a9e7a1cb5e4, 1

	.ident	"AMD clang version 22.0.0git (https://github.com/RadeonOpenCompute/llvm-project roc-7.2.4 26084 f58b06dce1f9c15707c5f808fd002e18c2accf7e)"
	.section	".note.GNU-stack","",@progbits
	.addrsig
	.addrsig_sym __hip_cuid_a6bd8a9e7a1cb5e4
	.amdgpu_metadata
---
amdhsa.kernels:
  - .args:
      - .offset:         0
        .size:           4
        .value_kind:     by_value
      - .offset:         4
        .size:           4
        .value_kind:     by_value
      - .offset:         8
        .size:           4
        .value_kind:     by_value
      - .offset:         12
        .size:           4
        .value_kind:     by_value
      - .offset:         16
        .size:           4
        .value_kind:     by_value
      - .offset:         20
        .size:           4
        .value_kind:     by_value
      - .offset:         24
        .size:           4
        .value_kind:     by_value
      - .offset:         28
        .size:           4
        .value_kind:     by_value
      - .offset:         32
        .size:           4
        .value_kind:     by_value
      - .offset:         36
        .size:           4
        .value_kind:     by_value
      - .offset:         40
        .size:           4
        .value_kind:     by_value
      - .offset:         44
        .size:           4
        .value_kind:     by_value
      - .offset:         48
        .size:           8
        .value_kind:     by_value
      - .offset:         56
        .size:           8
        .value_kind:     by_value
      - .actual_access:  read_only
        .address_space:  global
        .offset:         64
        .size:           8
        .value_kind:     global_buffer
      - .actual_access:  read_only
        .address_space:  global
        .offset:         72
        .size:           8
        .value_kind:     global_buffer
      - .actual_access:  read_only
        .address_space:  global
        .offset:         80
        .size:           8
        .value_kind:     global_buffer
      - .actual_access:  read_only
        .address_space:  global
        .offset:         88
        .size:           8
        .value_kind:     global_buffer
      - .actual_access:  read_only
        .address_space:  global
        .offset:         96
        .size:           8
        .value_kind:     global_buffer
      - .address_space:  global
        .offset:         104
        .size:           8
        .value_kind:     global_buffer
      - .actual_access:  read_only
        .address_space:  global
        .offset:         112
        .size:           8
        .value_kind:     global_buffer
      - .actual_access:  read_only
        .address_space:  global
        .offset:         120
        .size:           8
        .value_kind:     global_buffer
      - .actual_access:  read_only
        .address_space:  global
        .offset:         128
        .size:           8
        .value_kind:     global_buffer
      - .actual_access:  read_only
        .address_space:  global
        .offset:         136
        .size:           8
        .value_kind:     global_buffer
      - .actual_access:  read_only
        .address_space:  global
        .offset:         144
        .size:           8
        .value_kind:     global_buffer
      - .actual_access:  read_only
        .address_space:  global
        .offset:         152
        .size:           8
        .value_kind:     global_buffer
      - .actual_access:  read_only
        .address_space:  global
        .offset:         160
        .size:           8
        .value_kind:     global_buffer
      - .offset:         168
        .size:           4
        .value_kind:     hidden_block_count_x
      - .offset:         172
        .size:           4
        .value_kind:     hidden_block_count_y
      - .offset:         176
        .size:           4
        .value_kind:     hidden_block_count_z
      - .offset:         180
        .size:           2
        .value_kind:     hidden_group_size_x
      - .offset:         182
        .size:           2
        .value_kind:     hidden_group_size_y
      - .offset:         184
        .size:           2
        .value_kind:     hidden_group_size_z
      - .offset:         186
        .size:           2
        .value_kind:     hidden_remainder_x
      - .offset:         188
        .size:           2
        .value_kind:     hidden_remainder_y
      - .offset:         190
        .size:           2
        .value_kind:     hidden_remainder_z
      - .offset:         208
        .size:           8
        .value_kind:     hidden_global_offset_x
      - .offset:         216
        .size:           8
        .value_kind:     hidden_global_offset_y
      - .offset:         224
        .size:           8
        .value_kind:     hidden_global_offset_z
      - .offset:         232
        .size:           2
        .value_kind:     hidden_grid_dims
    .group_segment_fixed_size: 0
    .kernarg_segment_align: 8
    .kernarg_segment_size: 424
    .language:       OpenCL C
    .language_version:
      - 2
      - 0
    .max_flat_workgroup_size: 1024
    .name:           _Z7kernel1iiiiiiiiiiiiddPKdS0_S0_S0_S0_PdS0_S0_S0_S0_S0_S0_S0_
    .private_segment_fixed_size: 1108
    .sgpr_count:     52
    .sgpr_spill_count: 0
    .symbol:         _Z7kernel1iiiiiiiiiiiiddPKdS0_S0_S0_S0_PdS0_S0_S0_S0_S0_S0_S0_.kd
    .uniform_work_group_size: 1
    .uses_dynamic_stack: false
    .vgpr_count:     64
    .vgpr_spill_count: 447
    .wavefront_size: 64
  - .args:
      - .offset:         0
        .size:           4
        .value_kind:     by_value
      - .offset:         4
        .size:           4
        .value_kind:     by_value
      - .offset:         8
        .size:           4
        .value_kind:     by_value
      - .offset:         12
        .size:           4
        .value_kind:     by_value
      - .offset:         16
        .size:           4
        .value_kind:     by_value
      - .offset:         20
        .size:           4
        .value_kind:     by_value
      - .offset:         24
        .size:           4
        .value_kind:     by_value
      - .offset:         28
        .size:           4
        .value_kind:     by_value
      - .offset:         32
        .size:           4
        .value_kind:     by_value
      - .offset:         36
        .size:           4
        .value_kind:     by_value
      - .offset:         40
        .size:           4
        .value_kind:     by_value
      - .offset:         44
        .size:           4
        .value_kind:     by_value
      - .offset:         48
        .size:           8
        .value_kind:     by_value
      - .offset:         56
        .size:           8
        .value_kind:     by_value
      - .actual_access:  read_only
        .address_space:  global
        .offset:         64
        .size:           8
        .value_kind:     global_buffer
      - .actual_access:  read_only
        .address_space:  global
        .offset:         72
        .size:           8
        .value_kind:     global_buffer
      - .actual_access:  read_only
        .address_space:  global
        .offset:         80
        .size:           8
        .value_kind:     global_buffer
      - .actual_access:  read_only
        .address_space:  global
        .offset:         88
        .size:           8
        .value_kind:     global_buffer
      - .actual_access:  read_only
        .address_space:  global
        .offset:         96
        .size:           8
        .value_kind:     global_buffer
      - .address_space:  global
        .offset:         104
        .size:           8
        .value_kind:     global_buffer
      - .actual_access:  read_only
        .address_space:  global
        .offset:         112
        .size:           8
        .value_kind:     global_buffer
      - .actual_access:  read_only
        .address_space:  global
        .offset:         120
        .size:           8
        .value_kind:     global_buffer
      - .actual_access:  read_only
        .address_space:  global
        .offset:         128
        .size:           8
        .value_kind:     global_buffer
      - .actual_access:  read_only
        .address_space:  global
        .offset:         136
        .size:           8
        .value_kind:     global_buffer
      - .actual_access:  read_only
        .address_space:  global
        .offset:         144
        .size:           8
        .value_kind:     global_buffer
      - .actual_access:  read_only
        .address_space:  global
        .offset:         152
        .size:           8
        .value_kind:     global_buffer
      - .actual_access:  read_only
        .address_space:  global
        .offset:         160
        .size:           8
        .value_kind:     global_buffer
      - .offset:         168
        .size:           4
        .value_kind:     hidden_block_count_x
      - .offset:         172
        .size:           4
        .value_kind:     hidden_block_count_y
      - .offset:         176
        .size:           4
        .value_kind:     hidden_block_count_z
      - .offset:         180
        .size:           2
        .value_kind:     hidden_group_size_x
      - .offset:         182
        .size:           2
        .value_kind:     hidden_group_size_y
      - .offset:         184
        .size:           2
        .value_kind:     hidden_group_size_z
      - .offset:         186
        .size:           2
        .value_kind:     hidden_remainder_x
      - .offset:         188
        .size:           2
        .value_kind:     hidden_remainder_y
      - .offset:         190
        .size:           2
        .value_kind:     hidden_remainder_z
      - .offset:         208
        .size:           8
        .value_kind:     hidden_global_offset_x
      - .offset:         216
        .size:           8
        .value_kind:     hidden_global_offset_y
      - .offset:         224
        .size:           8
        .value_kind:     hidden_global_offset_z
      - .offset:         232
        .size:           2
        .value_kind:     hidden_grid_dims
    .group_segment_fixed_size: 0
    .kernarg_segment_align: 8
    .kernarg_segment_size: 424
    .language:       OpenCL C
    .language_version:
      - 2
      - 0
    .max_flat_workgroup_size: 1024
    .name:           _Z7kernel2iiiiiiiiiiiiddPKdS0_S0_S0_S0_PdS0_S0_S0_S0_S0_S0_S0_
    .private_segment_fixed_size: 1124
    .sgpr_count:     44
    .sgpr_spill_count: 0
    .symbol:         _Z7kernel2iiiiiiiiiiiiddPKdS0_S0_S0_S0_PdS0_S0_S0_S0_S0_S0_S0_.kd
    .uniform_work_group_size: 1
    .uses_dynamic_stack: false
    .vgpr_count:     64
    .vgpr_spill_count: 389
    .wavefront_size: 64
  - .args:
      - .offset:         0
        .size:           4
        .value_kind:     by_value
      - .offset:         4
        .size:           4
        .value_kind:     by_value
      - .offset:         8
        .size:           4
        .value_kind:     by_value
      - .offset:         12
        .size:           4
        .value_kind:     by_value
      - .offset:         16
        .size:           4
        .value_kind:     by_value
      - .offset:         20
        .size:           4
        .value_kind:     by_value
      - .offset:         24
        .size:           4
        .value_kind:     by_value
      - .offset:         28
        .size:           4
        .value_kind:     by_value
      - .offset:         32
        .size:           4
        .value_kind:     by_value
      - .offset:         36
        .size:           4
        .value_kind:     by_value
      - .offset:         40
        .size:           4
        .value_kind:     by_value
      - .offset:         44
        .size:           4
        .value_kind:     by_value
      - .offset:         48
        .size:           8
        .value_kind:     by_value
      - .offset:         56
        .size:           8
        .value_kind:     by_value
      - .actual_access:  read_only
        .address_space:  global
        .offset:         64
        .size:           8
        .value_kind:     global_buffer
      - .actual_access:  read_only
        .address_space:  global
        .offset:         72
        .size:           8
        .value_kind:     global_buffer
      - .actual_access:  read_only
        .address_space:  global
        .offset:         80
        .size:           8
        .value_kind:     global_buffer
      - .actual_access:  read_only
        .address_space:  global
        .offset:         88
        .size:           8
        .value_kind:     global_buffer
      - .actual_access:  read_only
        .address_space:  global
        .offset:         96
        .size:           8
        .value_kind:     global_buffer
      - .address_space:  global
        .offset:         104
        .size:           8
        .value_kind:     global_buffer
      - .actual_access:  read_only
        .address_space:  global
        .offset:         112
        .size:           8
        .value_kind:     global_buffer
      - .actual_access:  read_only
        .address_space:  global
        .offset:         120
        .size:           8
        .value_kind:     global_buffer
      - .actual_access:  read_only
        .address_space:  global
        .offset:         128
        .size:           8
        .value_kind:     global_buffer
      - .actual_access:  read_only
        .address_space:  global
        .offset:         136
        .size:           8
        .value_kind:     global_buffer
      - .actual_access:  read_only
        .address_space:  global
        .offset:         144
        .size:           8
        .value_kind:     global_buffer
      - .actual_access:  read_only
        .address_space:  global
        .offset:         152
        .size:           8
        .value_kind:     global_buffer
      - .actual_access:  read_only
        .address_space:  global
        .offset:         160
        .size:           8
        .value_kind:     global_buffer
      - .offset:         168
        .size:           4
        .value_kind:     hidden_block_count_x
      - .offset:         172
        .size:           4
        .value_kind:     hidden_block_count_y
      - .offset:         176
        .size:           4
        .value_kind:     hidden_block_count_z
      - .offset:         180
        .size:           2
        .value_kind:     hidden_group_size_x
      - .offset:         182
        .size:           2
        .value_kind:     hidden_group_size_y
      - .offset:         184
        .size:           2
        .value_kind:     hidden_group_size_z
      - .offset:         186
        .size:           2
        .value_kind:     hidden_remainder_x
      - .offset:         188
        .size:           2
        .value_kind:     hidden_remainder_y
      - .offset:         190
        .size:           2
        .value_kind:     hidden_remainder_z
      - .offset:         208
        .size:           8
        .value_kind:     hidden_global_offset_x
      - .offset:         216
        .size:           8
        .value_kind:     hidden_global_offset_y
      - .offset:         224
        .size:           8
        .value_kind:     hidden_global_offset_z
      - .offset:         232
        .size:           2
        .value_kind:     hidden_grid_dims
    .group_segment_fixed_size: 0
    .kernarg_segment_align: 8
    .kernarg_segment_size: 424
    .language:       OpenCL C
    .language_version:
      - 2
      - 0
    .max_flat_workgroup_size: 1024
    .name:           _Z7kernel3iiiiiiiiiiiiddPKdS0_S0_S0_S0_PdS0_S0_S0_S0_S0_S0_S0_
    .private_segment_fixed_size: 1056
    .sgpr_count:     36
    .sgpr_spill_count: 0
    .symbol:         _Z7kernel3iiiiiiiiiiiiddPKdS0_S0_S0_S0_PdS0_S0_S0_S0_S0_S0_S0_.kd
    .uniform_work_group_size: 1
    .uses_dynamic_stack: false
    .vgpr_count:     64
    .vgpr_spill_count: 365
    .wavefront_size: 64
  - .args:
      - .offset:         0
        .size:           4
        .value_kind:     by_value
      - .offset:         4
        .size:           4
        .value_kind:     by_value
      - .offset:         8
        .size:           4
        .value_kind:     by_value
      - .offset:         12
        .size:           4
        .value_kind:     by_value
      - .offset:         16
        .size:           4
        .value_kind:     by_value
      - .offset:         20
        .size:           4
        .value_kind:     by_value
      - .offset:         24
        .size:           4
        .value_kind:     by_value
      - .offset:         28
        .size:           4
        .value_kind:     by_value
      - .offset:         32
        .size:           4
        .value_kind:     by_value
      - .offset:         36
        .size:           4
        .value_kind:     by_value
      - .offset:         40
        .size:           4
        .value_kind:     by_value
      - .offset:         44
        .size:           4
        .value_kind:     by_value
      - .offset:         48
        .size:           8
        .value_kind:     by_value
      - .offset:         56
        .size:           8
        .value_kind:     by_value
      - .actual_access:  read_only
        .address_space:  global
        .offset:         64
        .size:           8
        .value_kind:     global_buffer
      - .actual_access:  read_only
        .address_space:  global
        .offset:         72
        .size:           8
        .value_kind:     global_buffer
      - .actual_access:  read_only
        .address_space:  global
        .offset:         80
        .size:           8
        .value_kind:     global_buffer
      - .actual_access:  read_only
        .address_space:  global
        .offset:         88
        .size:           8
        .value_kind:     global_buffer
      - .actual_access:  read_only
        .address_space:  global
        .offset:         96
        .size:           8
        .value_kind:     global_buffer
      - .address_space:  global
        .offset:         104
        .size:           8
        .value_kind:     global_buffer
      - .actual_access:  read_only
        .address_space:  global
        .offset:         112
        .size:           8
        .value_kind:     global_buffer
      - .actual_access:  read_only
        .address_space:  global
        .offset:         120
        .size:           8
        .value_kind:     global_buffer
      - .actual_access:  read_only
        .address_space:  global
        .offset:         128
        .size:           8
        .value_kind:     global_buffer
      - .actual_access:  read_only
        .address_space:  global
        .offset:         136
        .size:           8
        .value_kind:     global_buffer
      - .actual_access:  read_only
        .address_space:  global
        .offset:         144
        .size:           8
        .value_kind:     global_buffer
      - .actual_access:  read_only
        .address_space:  global
        .offset:         152
        .size:           8
        .value_kind:     global_buffer
      - .actual_access:  read_only
        .address_space:  global
        .offset:         160
        .size:           8
        .value_kind:     global_buffer
      - .offset:         168
        .size:           4
        .value_kind:     hidden_block_count_x
      - .offset:         172
        .size:           4
        .value_kind:     hidden_block_count_y
      - .offset:         176
        .size:           4
        .value_kind:     hidden_block_count_z
      - .offset:         180
        .size:           2
        .value_kind:     hidden_group_size_x
      - .offset:         182
        .size:           2
        .value_kind:     hidden_group_size_y
      - .offset:         184
        .size:           2
        .value_kind:     hidden_group_size_z
      - .offset:         186
        .size:           2
        .value_kind:     hidden_remainder_x
      - .offset:         188
        .size:           2
        .value_kind:     hidden_remainder_y
      - .offset:         190
        .size:           2
        .value_kind:     hidden_remainder_z
      - .offset:         208
        .size:           8
        .value_kind:     hidden_global_offset_x
      - .offset:         216
        .size:           8
        .value_kind:     hidden_global_offset_y
      - .offset:         224
        .size:           8
        .value_kind:     hidden_global_offset_z
      - .offset:         232
        .size:           2
        .value_kind:     hidden_grid_dims
    .group_segment_fixed_size: 0
    .kernarg_segment_align: 8
    .kernarg_segment_size: 424
    .language:       OpenCL C
    .language_version:
      - 2
      - 0
    .max_flat_workgroup_size: 1024
    .name:           _Z7kernel4iiiiiiiiiiiiddPKdS0_S0_S0_S0_PdS0_S0_S0_S0_S0_S0_S0_
    .private_segment_fixed_size: 660
    .sgpr_count:     44
    .sgpr_spill_count: 0
    .symbol:         _Z7kernel4iiiiiiiiiiiiddPKdS0_S0_S0_S0_PdS0_S0_S0_S0_S0_S0_S0_.kd
    .uniform_work_group_size: 1
    .uses_dynamic_stack: false
    .vgpr_count:     64
    .vgpr_spill_count: 252
    .wavefront_size: 64
  - .args:
      - .offset:         0
        .size:           4
        .value_kind:     by_value
      - .offset:         4
        .size:           4
        .value_kind:     by_value
      - .offset:         8
        .size:           4
        .value_kind:     by_value
      - .offset:         12
        .size:           4
        .value_kind:     by_value
      - .offset:         16
        .size:           4
        .value_kind:     by_value
      - .offset:         20
        .size:           4
        .value_kind:     by_value
      - .offset:         24
        .size:           4
        .value_kind:     by_value
      - .offset:         28
        .size:           4
        .value_kind:     by_value
      - .offset:         32
        .size:           4
        .value_kind:     by_value
      - .offset:         36
        .size:           4
        .value_kind:     by_value
      - .offset:         40
        .size:           4
        .value_kind:     by_value
      - .offset:         44
        .size:           4
        .value_kind:     by_value
      - .offset:         48
        .size:           4
        .value_kind:     by_value
      - .offset:         56
        .size:           8
        .value_kind:     by_value
      - .offset:         64
        .size:           8
        .value_kind:     by_value
      - .actual_access:  read_only
        .address_space:  global
        .offset:         72
        .size:           8
        .value_kind:     global_buffer
      - .actual_access:  read_only
        .address_space:  global
        .offset:         80
        .size:           8
        .value_kind:     global_buffer
      - .actual_access:  read_only
        .address_space:  global
        .offset:         88
        .size:           8
        .value_kind:     global_buffer
      - .actual_access:  read_only
        .address_space:  global
        .offset:         96
        .size:           8
        .value_kind:     global_buffer
      - .actual_access:  read_only
        .address_space:  global
        .offset:         104
        .size:           8
        .value_kind:     global_buffer
      - .address_space:  global
        .offset:         112
        .size:           8
        .value_kind:     global_buffer
      - .actual_access:  read_only
        .address_space:  global
        .offset:         120
        .size:           8
        .value_kind:     global_buffer
      - .actual_access:  read_only
        .address_space:  global
        .offset:         128
        .size:           8
        .value_kind:     global_buffer
      - .actual_access:  read_only
        .address_space:  global
        .offset:         136
        .size:           8
        .value_kind:     global_buffer
      - .actual_access:  read_only
        .address_space:  global
        .offset:         144
        .size:           8
        .value_kind:     global_buffer
      - .actual_access:  read_only
        .address_space:  global
        .offset:         152
        .size:           8
        .value_kind:     global_buffer
      - .actual_access:  read_only
        .address_space:  global
        .offset:         160
        .size:           8
        .value_kind:     global_buffer
      - .actual_access:  read_only
        .address_space:  global
        .offset:         168
        .size:           8
        .value_kind:     global_buffer
      - .offset:         176
        .size:           4
        .value_kind:     hidden_block_count_x
      - .offset:         180
        .size:           4
        .value_kind:     hidden_block_count_y
      - .offset:         184
        .size:           4
        .value_kind:     hidden_block_count_z
      - .offset:         188
        .size:           2
        .value_kind:     hidden_group_size_x
      - .offset:         190
        .size:           2
        .value_kind:     hidden_group_size_y
      - .offset:         192
        .size:           2
        .value_kind:     hidden_group_size_z
      - .offset:         194
        .size:           2
        .value_kind:     hidden_remainder_x
      - .offset:         196
        .size:           2
        .value_kind:     hidden_remainder_y
      - .offset:         198
        .size:           2
        .value_kind:     hidden_remainder_z
      - .offset:         216
        .size:           8
        .value_kind:     hidden_global_offset_x
      - .offset:         224
        .size:           8
        .value_kind:     hidden_global_offset_y
      - .offset:         232
        .size:           8
        .value_kind:     hidden_global_offset_z
      - .offset:         240
        .size:           2
        .value_kind:     hidden_grid_dims
    .group_segment_fixed_size: 0
    .kernarg_segment_align: 8
    .kernarg_segment_size: 432
    .language:       OpenCL C
    .language_version:
      - 2
      - 0
    .max_flat_workgroup_size: 1024
    .name:           _Z7kernel5iiiiiiiiiiiiiddPKdS0_S0_S0_S0_PdS0_S0_S0_S0_S0_S0_S0_
    .private_segment_fixed_size: 1128
    .sgpr_count:     52
    .sgpr_spill_count: 0
    .symbol:         _Z7kernel5iiiiiiiiiiiiiddPKdS0_S0_S0_S0_PdS0_S0_S0_S0_S0_S0_S0_.kd
    .uniform_work_group_size: 1
    .uses_dynamic_stack: false
    .vgpr_count:     64
    .vgpr_spill_count: 447
    .wavefront_size: 64
amdhsa.target:   amdgcn-amd-amdhsa--gfx906
amdhsa.version:
  - 1
  - 2
...

	.end_amdgpu_metadata
